;; amdgpu-corpus repo=ROCm/hipBLASLt kind=compiled arch=gfx906 opt=O3
	.amdgcn_target "amdgcn-amd-amdhsa--gfx906"
	.amdhsa_code_object_version 6
	.text
	.p2align	2                               ; -- Begin function __ockl_fprintf_append_string_n
	.type	__ockl_fprintf_append_string_n,@function
__ockl_fprintf_append_string_n:         ; @__ockl_fprintf_append_string_n
; %bb.0:
	s_waitcnt vmcnt(0) expcnt(0) lgkmcnt(0)
	v_or_b32_e32 v2, 2, v0
	v_cmp_eq_u32_e32 vcc, 0, v6
	s_getpc_b64 s[4:5]
	s_add_u32 s4, s4, .str@rel32@lo+4
	s_addc_u32 s5, s5, .str@rel32@hi+12
	s_mov_b32 s20, 0
	v_cndmask_b32_e32 v36, v2, v0, vcc
	s_mov_b64 s[6:7], 0
	s_cmp_lg_u64 s[4:5], 0
	v_mbcnt_lo_u32_b32 v37, -1, 0
	s_cbranch_scc0 .LBB0_112
; %bb.1:
	s_load_dwordx2 s[10:11], s[8:9], 0x50
	s_getpc_b64 s[4:5]
	s_add_u32 s4, s4, .str@rel32@lo+4
	s_addc_u32 s5, s5, .str@rel32@hi+12
	v_and_b32_e32 v0, -3, v36
	v_mov_b32_e32 v31, s5
	v_mov_b32_e32 v11, v1
	v_and_b32_e32 v38, 2, v36
	v_mov_b32_e32 v3, 0
	v_mbcnt_hi_u32_b32 v39, -1, v37
	v_mov_b32_e32 v30, s4
	s_movk_i32 s21, 0x1e0
	v_mov_b32_e32 v8, 2
	v_mov_b32_e32 v9, 1
	;; [unrolled: 1-line block ×3, first 2 shown]
	s_branch .LBB0_3
.LBB0_2:                                ;   in Loop: Header=BB0_3 Depth=1
	s_or_b64 exec, exec, s[14:15]
	v_sub_co_u32_e32 v4, vcc, v4, v32
	v_subb_co_u32_e32 v5, vcc, v5, v33, vcc
	v_cmp_eq_u64_e32 vcc, 0, v[4:5]
	s_or_b64 s[6:7], vcc, s[6:7]
	v_add_co_u32_e32 v30, vcc, v30, v32
	v_addc_co_u32_e32 v31, vcc, v31, v33, vcc
	s_andn2_b64 exec, exec, s[6:7]
	s_cbranch_execz .LBB0_85
.LBB0_3:                                ; =>This Loop Header: Depth=1
                                        ;     Child Loop BB0_6 Depth 2
                                        ;     Child Loop BB0_14 Depth 2
	;; [unrolled: 1-line block ×11, first 2 shown]
	v_cmp_gt_u64_e32 vcc, 56, v[4:5]
	v_add_co_u32_e64 v16, s[4:5], 8, v30
	v_cndmask_b32_e32 v33, 0, v5, vcc
	v_cndmask_b32_e32 v32, 56, v4, vcc
	v_cmp_gt_u64_e32 vcc, 8, v[4:5]
	v_addc_co_u32_e64 v17, s[4:5], 0, v31, s[4:5]
	s_and_saveexec_b64 s[4:5], vcc
	s_xor_b64 s[4:5], exec, s[4:5]
	s_cbranch_execz .LBB0_9
; %bb.4:                                ;   in Loop: Header=BB0_3 Depth=1
	s_waitcnt vmcnt(0)
	v_mov_b32_e32 v12, 0
	v_cmp_ne_u64_e32 vcc, 0, v[4:5]
	v_mov_b32_e32 v13, 0
	s_and_saveexec_b64 s[12:13], vcc
	s_cbranch_execz .LBB0_8
; %bb.5:                                ;   in Loop: Header=BB0_3 Depth=1
	v_lshlrev_b64 v[6:7], 3, v[32:33]
	v_mov_b32_e32 v12, 0
	v_mov_b32_e32 v14, v30
	s_mov_b64 s[14:15], 0
	v_mov_b32_e32 v13, 0
	v_mov_b32_e32 v15, v31
	s_mov_b64 s[16:17], 0
.LBB0_6:                                ;   Parent Loop BB0_3 Depth=1
                                        ; =>  This Inner Loop Header: Depth=2
	global_load_ubyte v0, v[14:15], off
	v_mov_b32_e32 v17, s20
	v_add_co_u32_e32 v14, vcc, 1, v14
	v_addc_co_u32_e32 v15, vcc, 0, v15, vcc
	s_waitcnt vmcnt(0)
	v_and_b32_e32 v16, 0xffff, v0
	v_lshlrev_b64 v[16:17], s16, v[16:17]
	s_add_u32 s16, s16, 8
	s_addc_u32 s17, s17, 0
	v_cmp_eq_u32_e32 vcc, s16, v6
	v_or_b32_e32 v13, v17, v13
	s_or_b64 s[14:15], vcc, s[14:15]
	v_or_b32_e32 v12, v16, v12
	s_andn2_b64 exec, exec, s[14:15]
	s_cbranch_execnz .LBB0_6
; %bb.7:                                ;   in Loop: Header=BB0_3 Depth=1
	s_or_b64 exec, exec, s[14:15]
.LBB0_8:                                ;   in Loop: Header=BB0_3 Depth=1
	s_or_b64 exec, exec, s[12:13]
	v_mov_b32_e32 v16, v30
	v_mov_b32_e32 v17, v31
.LBB0_9:                                ;   in Loop: Header=BB0_3 Depth=1
	s_or_saveexec_b64 s[4:5], s[4:5]
	v_mov_b32_e32 v0, 0
	s_xor_b64 exec, exec, s[4:5]
	s_cbranch_execz .LBB0_11
; %bb.10:                               ;   in Loop: Header=BB0_3 Depth=1
	global_load_dwordx2 v[12:13], v[30:31], off
	v_add_u32_e32 v0, -8, v32
.LBB0_11:                               ;   in Loop: Header=BB0_3 Depth=1
	s_or_b64 exec, exec, s[4:5]
	v_add_co_u32_e64 v6, s[4:5], 8, v16
	v_cmp_gt_u32_e32 vcc, 8, v0
	v_addc_co_u32_e64 v7, s[4:5], 0, v17, s[4:5]
                                        ; implicit-def: $vgpr14_vgpr15
	s_and_saveexec_b64 s[4:5], vcc
	s_xor_b64 s[4:5], exec, s[4:5]
	s_cbranch_execz .LBB0_17
; %bb.12:                               ;   in Loop: Header=BB0_3 Depth=1
	v_mov_b32_e32 v14, 0
	v_mov_b32_e32 v15, 0
	v_cmp_ne_u32_e32 vcc, 0, v0
	s_and_saveexec_b64 s[12:13], vcc
	s_cbranch_execz .LBB0_16
; %bb.13:                               ;   in Loop: Header=BB0_3 Depth=1
	v_mov_b32_e32 v14, 0
	s_mov_b64 s[14:15], 0
	v_mov_b32_e32 v15, 0
	s_mov_b64 s[16:17], 0
	s_mov_b64 s[18:19], 0
.LBB0_14:                               ;   Parent Loop BB0_3 Depth=1
                                        ; =>  This Inner Loop Header: Depth=2
	v_mov_b32_e32 v2, s19
	v_add_co_u32_e32 v6, vcc, s18, v16
	v_addc_co_u32_e32 v7, vcc, v17, v2, vcc
	global_load_ubyte v2, v[6:7], off
	s_add_u32 s18, s18, 1
	v_mov_b32_e32 v7, s20
	s_addc_u32 s19, s19, 0
	v_cmp_eq_u32_e32 vcc, s18, v0
	s_waitcnt vmcnt(0)
	v_and_b32_e32 v6, 0xffff, v2
	v_lshlrev_b64 v[6:7], s16, v[6:7]
	s_add_u32 s16, s16, 8
	s_addc_u32 s17, s17, 0
	v_or_b32_e32 v15, v7, v15
	s_or_b64 s[14:15], vcc, s[14:15]
	v_or_b32_e32 v14, v6, v14
	s_andn2_b64 exec, exec, s[14:15]
	s_cbranch_execnz .LBB0_14
; %bb.15:                               ;   in Loop: Header=BB0_3 Depth=1
	s_or_b64 exec, exec, s[14:15]
.LBB0_16:                               ;   in Loop: Header=BB0_3 Depth=1
	s_or_b64 exec, exec, s[12:13]
	v_mov_b32_e32 v6, v16
	v_mov_b32_e32 v7, v17
                                        ; implicit-def: $vgpr0
.LBB0_17:                               ;   in Loop: Header=BB0_3 Depth=1
	s_or_saveexec_b64 s[4:5], s[4:5]
	v_mov_b32_e32 v2, 0
	s_xor_b64 exec, exec, s[4:5]
	s_cbranch_execz .LBB0_19
; %bb.18:                               ;   in Loop: Header=BB0_3 Depth=1
	global_load_dwordx2 v[14:15], v[16:17], off
	v_add_u32_e32 v2, -8, v0
.LBB0_19:                               ;   in Loop: Header=BB0_3 Depth=1
	s_or_b64 exec, exec, s[4:5]
	v_add_co_u32_e64 v20, s[4:5], 8, v6
	v_cmp_gt_u32_e32 vcc, 8, v2
	v_addc_co_u32_e64 v21, s[4:5], 0, v7, s[4:5]
	s_and_saveexec_b64 s[4:5], vcc
	s_xor_b64 s[4:5], exec, s[4:5]
	s_cbranch_execz .LBB0_25
; %bb.20:                               ;   in Loop: Header=BB0_3 Depth=1
	v_mov_b32_e32 v16, 0
	v_mov_b32_e32 v17, 0
	v_cmp_ne_u32_e32 vcc, 0, v2
	s_and_saveexec_b64 s[12:13], vcc
	s_cbranch_execz .LBB0_24
; %bb.21:                               ;   in Loop: Header=BB0_3 Depth=1
	v_mov_b32_e32 v16, 0
	s_mov_b64 s[14:15], 0
	v_mov_b32_e32 v17, 0
	s_mov_b64 s[16:17], 0
	s_mov_b64 s[18:19], 0
.LBB0_22:                               ;   Parent Loop BB0_3 Depth=1
                                        ; =>  This Inner Loop Header: Depth=2
	v_mov_b32_e32 v0, s19
	v_add_co_u32_e32 v18, vcc, s18, v6
	v_addc_co_u32_e32 v19, vcc, v7, v0, vcc
	global_load_ubyte v0, v[18:19], off
	s_add_u32 s18, s18, 1
	v_mov_b32_e32 v19, s20
	s_addc_u32 s19, s19, 0
	v_cmp_eq_u32_e32 vcc, s18, v2
	s_waitcnt vmcnt(0)
	v_and_b32_e32 v18, 0xffff, v0
	v_lshlrev_b64 v[18:19], s16, v[18:19]
	s_add_u32 s16, s16, 8
	s_addc_u32 s17, s17, 0
	v_or_b32_e32 v17, v19, v17
	s_or_b64 s[14:15], vcc, s[14:15]
	v_or_b32_e32 v16, v18, v16
	s_andn2_b64 exec, exec, s[14:15]
	s_cbranch_execnz .LBB0_22
; %bb.23:                               ;   in Loop: Header=BB0_3 Depth=1
	s_or_b64 exec, exec, s[14:15]
.LBB0_24:                               ;   in Loop: Header=BB0_3 Depth=1
	s_or_b64 exec, exec, s[12:13]
	v_mov_b32_e32 v21, v7
	v_mov_b32_e32 v20, v6
                                        ; implicit-def: $vgpr2
.LBB0_25:                               ;   in Loop: Header=BB0_3 Depth=1
	s_or_saveexec_b64 s[4:5], s[4:5]
	v_mov_b32_e32 v0, 0
	s_xor_b64 exec, exec, s[4:5]
	s_cbranch_execz .LBB0_27
; %bb.26:                               ;   in Loop: Header=BB0_3 Depth=1
	global_load_dwordx2 v[16:17], v[6:7], off
	v_add_u32_e32 v0, -8, v2
.LBB0_27:                               ;   in Loop: Header=BB0_3 Depth=1
	s_or_b64 exec, exec, s[4:5]
	v_add_co_u32_e64 v6, s[4:5], 8, v20
	v_cmp_gt_u32_e32 vcc, 8, v0
	v_addc_co_u32_e64 v7, s[4:5], 0, v21, s[4:5]
                                        ; implicit-def: $vgpr18_vgpr19
	s_and_saveexec_b64 s[4:5], vcc
	s_xor_b64 s[4:5], exec, s[4:5]
	s_cbranch_execz .LBB0_33
; %bb.28:                               ;   in Loop: Header=BB0_3 Depth=1
	v_mov_b32_e32 v18, 0
	v_mov_b32_e32 v19, 0
	v_cmp_ne_u32_e32 vcc, 0, v0
	s_and_saveexec_b64 s[12:13], vcc
	s_cbranch_execz .LBB0_32
; %bb.29:                               ;   in Loop: Header=BB0_3 Depth=1
	v_mov_b32_e32 v18, 0
	s_mov_b64 s[14:15], 0
	v_mov_b32_e32 v19, 0
	s_mov_b64 s[16:17], 0
	s_mov_b64 s[18:19], 0
.LBB0_30:                               ;   Parent Loop BB0_3 Depth=1
                                        ; =>  This Inner Loop Header: Depth=2
	v_mov_b32_e32 v2, s19
	v_add_co_u32_e32 v6, vcc, s18, v20
	v_addc_co_u32_e32 v7, vcc, v21, v2, vcc
	global_load_ubyte v2, v[6:7], off
	s_add_u32 s18, s18, 1
	v_mov_b32_e32 v7, s20
	s_addc_u32 s19, s19, 0
	v_cmp_eq_u32_e32 vcc, s18, v0
	s_waitcnt vmcnt(0)
	v_and_b32_e32 v6, 0xffff, v2
	v_lshlrev_b64 v[6:7], s16, v[6:7]
	s_add_u32 s16, s16, 8
	s_addc_u32 s17, s17, 0
	v_or_b32_e32 v19, v7, v19
	s_or_b64 s[14:15], vcc, s[14:15]
	v_or_b32_e32 v18, v6, v18
	s_andn2_b64 exec, exec, s[14:15]
	s_cbranch_execnz .LBB0_30
; %bb.31:                               ;   in Loop: Header=BB0_3 Depth=1
	s_or_b64 exec, exec, s[14:15]
.LBB0_32:                               ;   in Loop: Header=BB0_3 Depth=1
	s_or_b64 exec, exec, s[12:13]
	v_mov_b32_e32 v6, v20
	v_mov_b32_e32 v7, v21
                                        ; implicit-def: $vgpr0
.LBB0_33:                               ;   in Loop: Header=BB0_3 Depth=1
	s_or_saveexec_b64 s[4:5], s[4:5]
	v_mov_b32_e32 v2, 0
	s_xor_b64 exec, exec, s[4:5]
	s_cbranch_execz .LBB0_35
; %bb.34:                               ;   in Loop: Header=BB0_3 Depth=1
	global_load_dwordx2 v[18:19], v[20:21], off
	v_add_u32_e32 v2, -8, v0
.LBB0_35:                               ;   in Loop: Header=BB0_3 Depth=1
	s_or_b64 exec, exec, s[4:5]
	v_add_co_u32_e64 v24, s[4:5], 8, v6
	v_cmp_gt_u32_e32 vcc, 8, v2
	v_addc_co_u32_e64 v25, s[4:5], 0, v7, s[4:5]
	s_and_saveexec_b64 s[4:5], vcc
	s_xor_b64 s[4:5], exec, s[4:5]
	s_cbranch_execz .LBB0_41
; %bb.36:                               ;   in Loop: Header=BB0_3 Depth=1
	v_mov_b32_e32 v20, 0
	v_mov_b32_e32 v21, 0
	v_cmp_ne_u32_e32 vcc, 0, v2
	s_and_saveexec_b64 s[12:13], vcc
	s_cbranch_execz .LBB0_40
; %bb.37:                               ;   in Loop: Header=BB0_3 Depth=1
	v_mov_b32_e32 v20, 0
	s_mov_b64 s[14:15], 0
	v_mov_b32_e32 v21, 0
	s_mov_b64 s[16:17], 0
	s_mov_b64 s[18:19], 0
.LBB0_38:                               ;   Parent Loop BB0_3 Depth=1
                                        ; =>  This Inner Loop Header: Depth=2
	v_mov_b32_e32 v0, s19
	v_add_co_u32_e32 v22, vcc, s18, v6
	v_addc_co_u32_e32 v23, vcc, v7, v0, vcc
	global_load_ubyte v0, v[22:23], off
	s_add_u32 s18, s18, 1
	v_mov_b32_e32 v23, s20
	s_addc_u32 s19, s19, 0
	v_cmp_eq_u32_e32 vcc, s18, v2
	s_waitcnt vmcnt(0)
	v_and_b32_e32 v22, 0xffff, v0
	v_lshlrev_b64 v[22:23], s16, v[22:23]
	s_add_u32 s16, s16, 8
	s_addc_u32 s17, s17, 0
	v_or_b32_e32 v21, v23, v21
	s_or_b64 s[14:15], vcc, s[14:15]
	v_or_b32_e32 v20, v22, v20
	s_andn2_b64 exec, exec, s[14:15]
	s_cbranch_execnz .LBB0_38
; %bb.39:                               ;   in Loop: Header=BB0_3 Depth=1
	s_or_b64 exec, exec, s[14:15]
.LBB0_40:                               ;   in Loop: Header=BB0_3 Depth=1
	s_or_b64 exec, exec, s[12:13]
	v_mov_b32_e32 v25, v7
	v_mov_b32_e32 v24, v6
                                        ; implicit-def: $vgpr2
.LBB0_41:                               ;   in Loop: Header=BB0_3 Depth=1
	s_or_saveexec_b64 s[4:5], s[4:5]
	v_mov_b32_e32 v0, 0
	s_xor_b64 exec, exec, s[4:5]
	s_cbranch_execz .LBB0_43
; %bb.42:                               ;   in Loop: Header=BB0_3 Depth=1
	global_load_dwordx2 v[20:21], v[6:7], off
	v_add_u32_e32 v0, -8, v2
.LBB0_43:                               ;   in Loop: Header=BB0_3 Depth=1
	s_or_b64 exec, exec, s[4:5]
	v_add_co_u32_e64 v6, s[4:5], 8, v24
	v_cmp_gt_u32_e32 vcc, 8, v0
	v_addc_co_u32_e64 v7, s[4:5], 0, v25, s[4:5]
                                        ; implicit-def: $vgpr22_vgpr23
	s_and_saveexec_b64 s[4:5], vcc
	s_xor_b64 s[4:5], exec, s[4:5]
	s_cbranch_execz .LBB0_49
; %bb.44:                               ;   in Loop: Header=BB0_3 Depth=1
	v_mov_b32_e32 v22, 0
	v_mov_b32_e32 v23, 0
	v_cmp_ne_u32_e32 vcc, 0, v0
	s_and_saveexec_b64 s[12:13], vcc
	s_cbranch_execz .LBB0_48
; %bb.45:                               ;   in Loop: Header=BB0_3 Depth=1
	v_mov_b32_e32 v22, 0
	s_mov_b64 s[14:15], 0
	v_mov_b32_e32 v23, 0
	s_mov_b64 s[16:17], 0
	s_mov_b64 s[18:19], 0
.LBB0_46:                               ;   Parent Loop BB0_3 Depth=1
                                        ; =>  This Inner Loop Header: Depth=2
	v_mov_b32_e32 v2, s19
	v_add_co_u32_e32 v6, vcc, s18, v24
	v_addc_co_u32_e32 v7, vcc, v25, v2, vcc
	global_load_ubyte v2, v[6:7], off
	s_add_u32 s18, s18, 1
	v_mov_b32_e32 v7, s20
	s_addc_u32 s19, s19, 0
	v_cmp_eq_u32_e32 vcc, s18, v0
	s_waitcnt vmcnt(0)
	v_and_b32_e32 v6, 0xffff, v2
	v_lshlrev_b64 v[6:7], s16, v[6:7]
	s_add_u32 s16, s16, 8
	s_addc_u32 s17, s17, 0
	v_or_b32_e32 v23, v7, v23
	s_or_b64 s[14:15], vcc, s[14:15]
	v_or_b32_e32 v22, v6, v22
	s_andn2_b64 exec, exec, s[14:15]
	s_cbranch_execnz .LBB0_46
; %bb.47:                               ;   in Loop: Header=BB0_3 Depth=1
	s_or_b64 exec, exec, s[14:15]
.LBB0_48:                               ;   in Loop: Header=BB0_3 Depth=1
	s_or_b64 exec, exec, s[12:13]
	v_mov_b32_e32 v6, v24
	v_mov_b32_e32 v7, v25
                                        ; implicit-def: $vgpr0
.LBB0_49:                               ;   in Loop: Header=BB0_3 Depth=1
	s_or_saveexec_b64 s[4:5], s[4:5]
	v_mov_b32_e32 v2, 0
	s_xor_b64 exec, exec, s[4:5]
	s_cbranch_execz .LBB0_51
; %bb.50:                               ;   in Loop: Header=BB0_3 Depth=1
	global_load_dwordx2 v[22:23], v[24:25], off
	v_add_u32_e32 v2, -8, v0
.LBB0_51:                               ;   in Loop: Header=BB0_3 Depth=1
	s_or_b64 exec, exec, s[4:5]
	v_cmp_gt_u32_e32 vcc, 8, v2
	s_and_saveexec_b64 s[4:5], vcc
	s_xor_b64 s[4:5], exec, s[4:5]
	s_cbranch_execz .LBB0_57
; %bb.52:                               ;   in Loop: Header=BB0_3 Depth=1
	v_mov_b32_e32 v24, 0
	v_mov_b32_e32 v25, 0
	v_cmp_ne_u32_e32 vcc, 0, v2
	s_and_saveexec_b64 s[12:13], vcc
	s_cbranch_execz .LBB0_56
; %bb.53:                               ;   in Loop: Header=BB0_3 Depth=1
	v_mov_b32_e32 v24, 0
	s_mov_b64 s[14:15], 0
	v_mov_b32_e32 v25, 0
	s_mov_b64 s[16:17], 0
.LBB0_54:                               ;   Parent Loop BB0_3 Depth=1
                                        ; =>  This Inner Loop Header: Depth=2
	global_load_ubyte v0, v[6:7], off
	v_mov_b32_e32 v27, s20
	v_add_co_u32_e32 v6, vcc, 1, v6
	v_add_u32_e32 v2, -1, v2
	v_addc_co_u32_e32 v7, vcc, 0, v7, vcc
	v_cmp_eq_u32_e32 vcc, 0, v2
	s_waitcnt vmcnt(0)
	v_and_b32_e32 v26, 0xffff, v0
	v_lshlrev_b64 v[26:27], s16, v[26:27]
	s_add_u32 s16, s16, 8
	s_addc_u32 s17, s17, 0
	v_or_b32_e32 v25, v27, v25
	s_or_b64 s[14:15], vcc, s[14:15]
	v_or_b32_e32 v24, v26, v24
	s_andn2_b64 exec, exec, s[14:15]
	s_cbranch_execnz .LBB0_54
; %bb.55:                               ;   in Loop: Header=BB0_3 Depth=1
	s_or_b64 exec, exec, s[14:15]
.LBB0_56:                               ;   in Loop: Header=BB0_3 Depth=1
	s_or_b64 exec, exec, s[12:13]
                                        ; implicit-def: $vgpr6_vgpr7
.LBB0_57:                               ;   in Loop: Header=BB0_3 Depth=1
	s_andn2_saveexec_b64 s[4:5], s[4:5]
	s_cbranch_execz .LBB0_59
; %bb.58:                               ;   in Loop: Header=BB0_3 Depth=1
	global_load_dwordx2 v[24:25], v[6:7], off
.LBB0_59:                               ;   in Loop: Header=BB0_3 Depth=1
	s_or_b64 exec, exec, s[4:5]
	v_readfirstlane_b32 s4, v39
	v_mov_b32_e32 v6, 0
	v_mov_b32_e32 v7, 0
	v_cmp_eq_u32_e64 s[4:5], s4, v39
	s_and_saveexec_b64 s[12:13], s[4:5]
	s_cbranch_execz .LBB0_65
; %bb.60:                               ;   in Loop: Header=BB0_3 Depth=1
	s_waitcnt lgkmcnt(0)
	global_load_dwordx2 v[28:29], v3, s[10:11] offset:24 glc
	s_waitcnt vmcnt(0)
	buffer_wbinvl1_vol
	global_load_dwordx2 v[6:7], v3, s[10:11] offset:40
	global_load_dwordx2 v[26:27], v3, s[10:11]
	s_waitcnt vmcnt(1)
	v_and_b32_e32 v0, v6, v28
	v_and_b32_e32 v2, v7, v29
	v_mul_lo_u32 v2, v2, 24
	v_mul_hi_u32 v6, v0, 24
	v_mul_lo_u32 v0, v0, 24
	v_add_u32_e32 v2, v6, v2
	s_waitcnt vmcnt(0)
	v_add_co_u32_e32 v6, vcc, v26, v0
	v_addc_co_u32_e32 v7, vcc, v27, v2, vcc
	global_load_dwordx2 v[26:27], v[6:7], off glc
	s_waitcnt vmcnt(0)
	global_atomic_cmpswap_x2 v[6:7], v3, v[26:29], s[10:11] offset:24 glc
	s_waitcnt vmcnt(0)
	buffer_wbinvl1_vol
	v_cmp_ne_u64_e32 vcc, v[6:7], v[28:29]
	s_and_saveexec_b64 s[14:15], vcc
	s_cbranch_execz .LBB0_64
; %bb.61:                               ;   in Loop: Header=BB0_3 Depth=1
	s_mov_b64 s[16:17], 0
.LBB0_62:                               ;   Parent Loop BB0_3 Depth=1
                                        ; =>  This Inner Loop Header: Depth=2
	s_sleep 1
	global_load_dwordx2 v[26:27], v3, s[10:11] offset:40
	global_load_dwordx2 v[34:35], v3, s[10:11]
	v_mov_b32_e32 v29, v7
	v_mov_b32_e32 v28, v6
	s_waitcnt vmcnt(1)
	v_and_b32_e32 v0, v26, v28
	s_waitcnt vmcnt(0)
	v_mad_u64_u32 v[6:7], s[18:19], v0, 24, v[34:35]
	v_and_b32_e32 v2, v27, v29
	v_mov_b32_e32 v0, v7
	v_mad_u64_u32 v[26:27], s[18:19], v2, 24, v[0:1]
	v_mov_b32_e32 v7, v26
	global_load_dwordx2 v[26:27], v[6:7], off glc
	s_waitcnt vmcnt(0)
	global_atomic_cmpswap_x2 v[6:7], v3, v[26:29], s[10:11] offset:24 glc
	s_waitcnt vmcnt(0)
	buffer_wbinvl1_vol
	v_cmp_eq_u64_e32 vcc, v[6:7], v[28:29]
	s_or_b64 s[16:17], vcc, s[16:17]
	s_andn2_b64 exec, exec, s[16:17]
	s_cbranch_execnz .LBB0_62
; %bb.63:                               ;   in Loop: Header=BB0_3 Depth=1
	s_or_b64 exec, exec, s[16:17]
.LBB0_64:                               ;   in Loop: Header=BB0_3 Depth=1
	s_or_b64 exec, exec, s[14:15]
.LBB0_65:                               ;   in Loop: Header=BB0_3 Depth=1
	s_or_b64 exec, exec, s[12:13]
	s_waitcnt lgkmcnt(0)
	global_load_dwordx2 v[34:35], v3, s[10:11] offset:40
	global_load_dwordx4 v[26:29], v3, s[10:11]
	v_readfirstlane_b32 s13, v7
	v_readfirstlane_b32 s12, v6
	s_mov_b64 s[14:15], exec
	s_waitcnt vmcnt(1)
	v_readfirstlane_b32 s16, v34
	v_readfirstlane_b32 s17, v35
	s_and_b64 s[16:17], s[16:17], s[12:13]
	s_mul_i32 s18, s17, 24
	s_mul_hi_u32 s19, s16, 24
	s_mul_i32 s22, s16, 24
	s_add_i32 s18, s19, s18
	v_mov_b32_e32 v0, s18
	s_waitcnt vmcnt(0)
	v_add_co_u32_e32 v34, vcc, s22, v26
	v_addc_co_u32_e32 v35, vcc, v27, v0, vcc
	s_and_saveexec_b64 s[18:19], s[4:5]
	s_cbranch_execz .LBB0_67
; %bb.66:                               ;   in Loop: Header=BB0_3 Depth=1
	v_mov_b32_e32 v6, s14
	v_mov_b32_e32 v7, s15
	global_store_dwordx4 v[34:35], v[6:9], off offset:8
.LBB0_67:                               ;   in Loop: Header=BB0_3 Depth=1
	s_or_b64 exec, exec, s[18:19]
	s_lshl_b64 s[14:15], s[16:17], 12
	v_mov_b32_e32 v2, s15
	v_add_co_u32_e32 v0, vcc, s14, v28
	v_addc_co_u32_e32 v28, vcc, v29, v2, vcc
	v_cmp_gt_u64_e32 vcc, 57, v[4:5]
	v_and_b32_e32 v7, 0xffffff1f, v10
	v_cndmask_b32_e32 v2, 0, v38, vcc
	v_lshl_add_u32 v6, v32, 2, 28
	v_or_b32_e32 v2, v7, v2
	v_and_or_b32 v10, v6, s21, v2
	v_lshlrev_b32_e32 v29, 6, v39
	v_readfirstlane_b32 s14, v0
	v_readfirstlane_b32 s15, v28
	s_nop 4
	global_store_dwordx4 v29, v[10:13], s[14:15]
	global_store_dwordx4 v29, v[14:17], s[14:15] offset:16
	global_store_dwordx4 v29, v[18:21], s[14:15] offset:32
	;; [unrolled: 1-line block ×3, first 2 shown]
	s_and_saveexec_b64 s[14:15], s[4:5]
	s_cbranch_execz .LBB0_75
; %bb.68:                               ;   in Loop: Header=BB0_3 Depth=1
	global_load_dwordx2 v[14:15], v3, s[10:11] offset:32 glc
	global_load_dwordx2 v[6:7], v3, s[10:11] offset:40
	v_mov_b32_e32 v12, s12
	v_mov_b32_e32 v13, s13
	s_waitcnt vmcnt(0)
	v_readfirstlane_b32 s16, v6
	v_readfirstlane_b32 s17, v7
	s_and_b64 s[16:17], s[16:17], s[12:13]
	s_mul_i32 s17, s17, 24
	s_mul_hi_u32 s18, s16, 24
	s_mul_i32 s16, s16, 24
	s_add_i32 s17, s18, s17
	v_mov_b32_e32 v2, s17
	v_add_co_u32_e32 v6, vcc, s16, v26
	v_addc_co_u32_e32 v7, vcc, v27, v2, vcc
	global_store_dwordx2 v[6:7], v[14:15], off
	s_waitcnt vmcnt(0)
	global_atomic_cmpswap_x2 v[12:13], v3, v[12:15], s[10:11] offset:32 glc
	s_waitcnt vmcnt(0)
	v_cmp_ne_u64_e32 vcc, v[12:13], v[14:15]
	s_and_saveexec_b64 s[16:17], vcc
	s_cbranch_execz .LBB0_71
; %bb.69:                               ;   in Loop: Header=BB0_3 Depth=1
	s_mov_b64 s[18:19], 0
.LBB0_70:                               ;   Parent Loop BB0_3 Depth=1
                                        ; =>  This Inner Loop Header: Depth=2
	s_sleep 1
	global_store_dwordx2 v[6:7], v[12:13], off
	v_mov_b32_e32 v10, s12
	v_mov_b32_e32 v11, s13
	s_waitcnt vmcnt(0)
	global_atomic_cmpswap_x2 v[10:11], v3, v[10:13], s[10:11] offset:32 glc
	s_waitcnt vmcnt(0)
	v_cmp_eq_u64_e32 vcc, v[10:11], v[12:13]
	v_mov_b32_e32 v13, v11
	s_or_b64 s[18:19], vcc, s[18:19]
	v_mov_b32_e32 v12, v10
	s_andn2_b64 exec, exec, s[18:19]
	s_cbranch_execnz .LBB0_70
.LBB0_71:                               ;   in Loop: Header=BB0_3 Depth=1
	s_or_b64 exec, exec, s[16:17]
	global_load_dwordx2 v[6:7], v3, s[10:11] offset:16
	s_mov_b64 s[18:19], exec
	v_mbcnt_lo_u32_b32 v2, s18, 0
	v_mbcnt_hi_u32_b32 v2, s19, v2
	v_cmp_eq_u32_e32 vcc, 0, v2
	s_and_saveexec_b64 s[16:17], vcc
	s_cbranch_execz .LBB0_73
; %bb.72:                               ;   in Loop: Header=BB0_3 Depth=1
	s_bcnt1_i32_b64 s18, s[18:19]
	v_mov_b32_e32 v2, s18
	s_waitcnt vmcnt(0)
	global_atomic_add_x2 v[6:7], v[2:3], off offset:8
.LBB0_73:                               ;   in Loop: Header=BB0_3 Depth=1
	s_or_b64 exec, exec, s[16:17]
	s_waitcnt vmcnt(0)
	global_load_dwordx2 v[10:11], v[6:7], off offset:16
	s_waitcnt vmcnt(0)
	v_cmp_eq_u64_e32 vcc, 0, v[10:11]
	s_cbranch_vccnz .LBB0_75
; %bb.74:                               ;   in Loop: Header=BB0_3 Depth=1
	global_load_dword v2, v[6:7], off offset:24
	s_waitcnt vmcnt(0)
	v_readfirstlane_b32 s16, v2
	s_and_b32 m0, s16, 0xffffff
	global_store_dwordx2 v[10:11], v[2:3], off
	s_sendmsg sendmsg(MSG_INTERRUPT)
.LBB0_75:                               ;   in Loop: Header=BB0_3 Depth=1
	s_or_b64 exec, exec, s[14:15]
	v_add_co_u32_e32 v6, vcc, v0, v29
	v_addc_co_u32_e32 v7, vcc, 0, v28, vcc
	s_branch .LBB0_79
.LBB0_76:                               ;   in Loop: Header=BB0_79 Depth=2
	s_or_b64 exec, exec, s[14:15]
	v_readfirstlane_b32 s14, v0
	s_cmp_eq_u32 s14, 0
	s_cbranch_scc1 .LBB0_78
; %bb.77:                               ;   in Loop: Header=BB0_79 Depth=2
	s_sleep 1
	s_cbranch_execnz .LBB0_79
	s_branch .LBB0_81
.LBB0_78:                               ;   in Loop: Header=BB0_3 Depth=1
	s_branch .LBB0_81
.LBB0_79:                               ;   Parent Loop BB0_3 Depth=1
                                        ; =>  This Inner Loop Header: Depth=2
	v_mov_b32_e32 v0, 1
	s_and_saveexec_b64 s[14:15], s[4:5]
	s_cbranch_execz .LBB0_76
; %bb.80:                               ;   in Loop: Header=BB0_79 Depth=2
	global_load_dword v0, v[34:35], off offset:20 glc
	s_waitcnt vmcnt(0)
	buffer_wbinvl1_vol
	v_and_b32_e32 v0, 1, v0
	s_branch .LBB0_76
.LBB0_81:                               ;   in Loop: Header=BB0_3 Depth=1
	global_load_dwordx4 v[10:13], v[6:7], off
	s_and_saveexec_b64 s[14:15], s[4:5]
	s_cbranch_execz .LBB0_2
; %bb.82:                               ;   in Loop: Header=BB0_3 Depth=1
	global_load_dwordx2 v[6:7], v3, s[10:11] offset:40
	global_load_dwordx2 v[16:17], v3, s[10:11] offset:24 glc
	global_load_dwordx2 v[12:13], v3, s[10:11]
	s_waitcnt vmcnt(2)
	v_readfirstlane_b32 s16, v6
	v_readfirstlane_b32 s17, v7
	s_add_u32 s18, s16, 1
	s_addc_u32 s19, s17, 0
	s_add_u32 s4, s18, s12
	s_addc_u32 s5, s19, s13
	s_cmp_eq_u64 s[4:5], 0
	s_cselect_b32 s5, s19, s5
	s_cselect_b32 s4, s18, s4
	s_and_b64 s[12:13], s[4:5], s[16:17]
	s_mul_i32 s13, s13, 24
	s_mul_hi_u32 s16, s12, 24
	s_mul_i32 s12, s12, 24
	s_add_i32 s13, s16, s13
	v_mov_b32_e32 v0, s13
	s_waitcnt vmcnt(0)
	v_add_co_u32_e32 v6, vcc, s12, v12
	v_addc_co_u32_e32 v7, vcc, v13, v0, vcc
	v_mov_b32_e32 v14, s4
	global_store_dwordx2 v[6:7], v[16:17], off
	v_mov_b32_e32 v15, s5
	s_waitcnt vmcnt(0)
	global_atomic_cmpswap_x2 v[14:15], v3, v[14:17], s[10:11] offset:24 glc
	s_waitcnt vmcnt(0)
	v_cmp_ne_u64_e32 vcc, v[14:15], v[16:17]
	s_and_b64 exec, exec, vcc
	s_cbranch_execz .LBB0_2
; %bb.83:                               ;   in Loop: Header=BB0_3 Depth=1
	s_mov_b64 s[12:13], 0
.LBB0_84:                               ;   Parent Loop BB0_3 Depth=1
                                        ; =>  This Inner Loop Header: Depth=2
	s_sleep 1
	global_store_dwordx2 v[6:7], v[14:15], off
	v_mov_b32_e32 v12, s4
	v_mov_b32_e32 v13, s5
	s_waitcnt vmcnt(0)
	global_atomic_cmpswap_x2 v[12:13], v3, v[12:15], s[10:11] offset:24 glc
	s_waitcnt vmcnt(0)
	v_cmp_eq_u64_e32 vcc, v[12:13], v[14:15]
	v_mov_b32_e32 v15, v13
	s_or_b64 s[12:13], vcc, s[12:13]
	v_mov_b32_e32 v14, v12
	s_andn2_b64 exec, exec, s[12:13]
	s_cbranch_execnz .LBB0_84
	s_branch .LBB0_2
.LBB0_85:
	s_or_b64 exec, exec, s[6:7]
	s_branch .LBB0_113
.LBB0_86:
	s_load_dwordx2 s[6:7], s[8:9], 0x50
	v_mbcnt_hi_u32_b32 v3, -1, v37
	v_readfirstlane_b32 s4, v3
	v_mov_b32_e32 v8, 0
	v_mov_b32_e32 v9, 0
	v_cmp_eq_u32_e64 s[4:5], s4, v3
	s_and_saveexec_b64 s[8:9], s[4:5]
	s_cbranch_execz .LBB0_92
; %bb.87:
	v_mov_b32_e32 v0, 0
	s_waitcnt lgkmcnt(0)
	global_load_dwordx2 v[6:7], v0, s[6:7] offset:24 glc
	s_waitcnt vmcnt(0)
	buffer_wbinvl1_vol
	global_load_dwordx2 v[4:5], v0, s[6:7] offset:40
	global_load_dwordx2 v[8:9], v0, s[6:7]
	s_waitcnt vmcnt(1)
	v_and_b32_e32 v2, v4, v6
	v_and_b32_e32 v4, v5, v7
	v_mul_lo_u32 v4, v4, 24
	v_mul_hi_u32 v5, v2, 24
	v_mul_lo_u32 v2, v2, 24
	v_add_u32_e32 v5, v5, v4
	s_waitcnt vmcnt(0)
	v_add_co_u32_e32 v4, vcc, v8, v2
	v_addc_co_u32_e32 v5, vcc, v9, v5, vcc
	global_load_dwordx2 v[4:5], v[4:5], off glc
	s_waitcnt vmcnt(0)
	global_atomic_cmpswap_x2 v[8:9], v0, v[4:7], s[6:7] offset:24 glc
	s_waitcnt vmcnt(0)
	buffer_wbinvl1_vol
	v_cmp_ne_u64_e32 vcc, v[8:9], v[6:7]
	s_and_saveexec_b64 s[10:11], vcc
	s_cbranch_execz .LBB0_91
; %bb.88:
	s_mov_b64 s[12:13], 0
.LBB0_89:                               ; =>This Inner Loop Header: Depth=1
	s_sleep 1
	global_load_dwordx2 v[4:5], v0, s[6:7] offset:40
	global_load_dwordx2 v[10:11], v0, s[6:7]
	v_mov_b32_e32 v6, v8
	v_mov_b32_e32 v7, v9
	s_waitcnt vmcnt(1)
	v_and_b32_e32 v2, v4, v6
	s_waitcnt vmcnt(0)
	v_mad_u64_u32 v[8:9], s[14:15], v2, 24, v[10:11]
	v_and_b32_e32 v4, v5, v7
	v_mov_b32_e32 v2, v9
	v_mad_u64_u32 v[4:5], s[14:15], v4, 24, v[2:3]
	v_mov_b32_e32 v9, v4
	global_load_dwordx2 v[4:5], v[8:9], off glc
	s_waitcnt vmcnt(0)
	global_atomic_cmpswap_x2 v[8:9], v0, v[4:7], s[6:7] offset:24 glc
	s_waitcnt vmcnt(0)
	buffer_wbinvl1_vol
	v_cmp_eq_u64_e32 vcc, v[8:9], v[6:7]
	s_or_b64 s[12:13], vcc, s[12:13]
	s_andn2_b64 exec, exec, s[12:13]
	s_cbranch_execnz .LBB0_89
; %bb.90:
	s_or_b64 exec, exec, s[12:13]
.LBB0_91:
	s_or_b64 exec, exec, s[10:11]
.LBB0_92:
	s_or_b64 exec, exec, s[8:9]
	v_mov_b32_e32 v2, 0
	s_waitcnt lgkmcnt(0)
	global_load_dwordx2 v[10:11], v2, s[6:7] offset:40
	global_load_dwordx4 v[4:7], v2, s[6:7]
	v_readfirstlane_b32 s9, v9
	v_readfirstlane_b32 s8, v8
	s_mov_b64 s[10:11], exec
	s_waitcnt vmcnt(1)
	v_readfirstlane_b32 s12, v10
	v_readfirstlane_b32 s13, v11
	s_and_b64 s[12:13], s[12:13], s[8:9]
	s_mul_i32 s14, s13, 24
	s_mul_hi_u32 s15, s12, 24
	s_mul_i32 s16, s12, 24
	s_add_i32 s14, s15, s14
	v_mov_b32_e32 v0, s14
	s_waitcnt vmcnt(0)
	v_add_co_u32_e32 v8, vcc, s16, v4
	v_addc_co_u32_e32 v9, vcc, v5, v0, vcc
	s_and_saveexec_b64 s[14:15], s[4:5]
	s_cbranch_execz .LBB0_94
; %bb.93:
	v_mov_b32_e32 v10, s10
	v_mov_b32_e32 v11, s11
	;; [unrolled: 1-line block ×4, first 2 shown]
	global_store_dwordx4 v[8:9], v[10:13], off offset:8
.LBB0_94:
	s_or_b64 exec, exec, s[14:15]
	s_lshl_b64 s[10:11], s[12:13], 12
	v_mov_b32_e32 v0, s11
	v_add_co_u32_e32 v6, vcc, s10, v6
	v_addc_co_u32_e32 v7, vcc, v7, v0, vcc
	s_movk_i32 s10, 0xff1f
	v_and_or_b32 v0, v36, s10, 32
	v_lshlrev_b32_e32 v10, 6, v3
	s_mov_b32 s12, 0
	v_mov_b32_e32 v3, v2
	v_readfirstlane_b32 s10, v6
	v_readfirstlane_b32 s11, v7
	s_mov_b32 s13, s12
	s_mov_b32 s14, s12
	;; [unrolled: 1-line block ×3, first 2 shown]
	s_nop 1
	global_store_dwordx4 v10, v[0:3], s[10:11]
	s_nop 0
	v_mov_b32_e32 v0, s12
	v_mov_b32_e32 v1, s13
	;; [unrolled: 1-line block ×4, first 2 shown]
	global_store_dwordx4 v10, v[0:3], s[10:11] offset:16
	global_store_dwordx4 v10, v[0:3], s[10:11] offset:32
	;; [unrolled: 1-line block ×3, first 2 shown]
	s_and_saveexec_b64 s[10:11], s[4:5]
	s_cbranch_execz .LBB0_102
; %bb.95:
	v_mov_b32_e32 v6, 0
	global_load_dwordx2 v[12:13], v6, s[6:7] offset:32 glc
	global_load_dwordx2 v[0:1], v6, s[6:7] offset:40
	v_mov_b32_e32 v10, s8
	v_mov_b32_e32 v11, s9
	s_waitcnt vmcnt(0)
	v_and_b32_e32 v0, s8, v0
	v_and_b32_e32 v1, s9, v1
	v_mul_lo_u32 v1, v1, 24
	v_mul_hi_u32 v2, v0, 24
	v_mul_lo_u32 v0, v0, 24
	v_add_u32_e32 v1, v2, v1
	v_add_co_u32_e32 v4, vcc, v4, v0
	v_addc_co_u32_e32 v5, vcc, v5, v1, vcc
	global_store_dwordx2 v[4:5], v[12:13], off
	s_waitcnt vmcnt(0)
	global_atomic_cmpswap_x2 v[2:3], v6, v[10:13], s[6:7] offset:32 glc
	s_waitcnt vmcnt(0)
	v_cmp_ne_u64_e32 vcc, v[2:3], v[12:13]
	s_and_saveexec_b64 s[12:13], vcc
	s_cbranch_execz .LBB0_98
; %bb.96:
	s_mov_b64 s[14:15], 0
.LBB0_97:                               ; =>This Inner Loop Header: Depth=1
	s_sleep 1
	global_store_dwordx2 v[4:5], v[2:3], off
	v_mov_b32_e32 v0, s8
	v_mov_b32_e32 v1, s9
	s_waitcnt vmcnt(0)
	global_atomic_cmpswap_x2 v[0:1], v6, v[0:3], s[6:7] offset:32 glc
	s_waitcnt vmcnt(0)
	v_cmp_eq_u64_e32 vcc, v[0:1], v[2:3]
	v_mov_b32_e32 v3, v1
	s_or_b64 s[14:15], vcc, s[14:15]
	v_mov_b32_e32 v2, v0
	s_andn2_b64 exec, exec, s[14:15]
	s_cbranch_execnz .LBB0_97
.LBB0_98:
	s_or_b64 exec, exec, s[12:13]
	v_mov_b32_e32 v3, 0
	global_load_dwordx2 v[0:1], v3, s[6:7] offset:16
	s_mov_b64 s[12:13], exec
	v_mbcnt_lo_u32_b32 v2, s12, 0
	v_mbcnt_hi_u32_b32 v2, s13, v2
	v_cmp_eq_u32_e32 vcc, 0, v2
	s_and_saveexec_b64 s[14:15], vcc
	s_cbranch_execz .LBB0_100
; %bb.99:
	s_bcnt1_i32_b64 s12, s[12:13]
	v_mov_b32_e32 v2, s12
	s_waitcnt vmcnt(0)
	global_atomic_add_x2 v[0:1], v[2:3], off offset:8
.LBB0_100:
	s_or_b64 exec, exec, s[14:15]
	s_waitcnt vmcnt(0)
	global_load_dwordx2 v[2:3], v[0:1], off offset:16
	s_waitcnt vmcnt(0)
	v_cmp_eq_u64_e32 vcc, 0, v[2:3]
	s_cbranch_vccnz .LBB0_102
; %bb.101:
	global_load_dword v0, v[0:1], off offset:24
	v_mov_b32_e32 v1, 0
	s_waitcnt vmcnt(0)
	v_readfirstlane_b32 s12, v0
	s_and_b32 m0, s12, 0xffffff
	global_store_dwordx2 v[2:3], v[0:1], off
	s_sendmsg sendmsg(MSG_INTERRUPT)
.LBB0_102:
	s_or_b64 exec, exec, s[10:11]
	s_branch .LBB0_106
.LBB0_103:                              ;   in Loop: Header=BB0_106 Depth=1
	s_or_b64 exec, exec, s[10:11]
	v_readfirstlane_b32 s10, v0
	s_cmp_eq_u32 s10, 0
	s_cbranch_scc1 .LBB0_105
; %bb.104:                              ;   in Loop: Header=BB0_106 Depth=1
	s_sleep 1
	s_cbranch_execnz .LBB0_106
	s_branch .LBB0_108
.LBB0_105:
	s_branch .LBB0_108
.LBB0_106:                              ; =>This Inner Loop Header: Depth=1
	v_mov_b32_e32 v0, 1
	s_and_saveexec_b64 s[10:11], s[4:5]
	s_cbranch_execz .LBB0_103
; %bb.107:                              ;   in Loop: Header=BB0_106 Depth=1
	global_load_dword v0, v[8:9], off offset:20 glc
	s_waitcnt vmcnt(0)
	buffer_wbinvl1_vol
	v_and_b32_e32 v0, 1, v0
	s_branch .LBB0_103
.LBB0_108:
	s_and_saveexec_b64 s[10:11], s[4:5]
	s_cbranch_execz .LBB0_111
; %bb.109:
	v_mov_b32_e32 v6, 0
	global_load_dwordx2 v[0:1], v6, s[6:7] offset:40
	global_load_dwordx2 v[9:10], v6, s[6:7] offset:24 glc
	global_load_dwordx2 v[2:3], v6, s[6:7]
	s_waitcnt vmcnt(2)
	v_readfirstlane_b32 s12, v0
	v_readfirstlane_b32 s13, v1
	s_add_u32 s14, s12, 1
	s_addc_u32 s15, s13, 0
	s_add_u32 s4, s14, s8
	s_addc_u32 s5, s15, s9
	s_cmp_eq_u64 s[4:5], 0
	s_cselect_b32 s5, s15, s5
	s_cselect_b32 s4, s14, s4
	s_and_b64 s[8:9], s[4:5], s[12:13]
	s_mul_i32 s9, s9, 24
	s_mul_hi_u32 s12, s8, 24
	s_mul_i32 s8, s8, 24
	s_add_i32 s9, s12, s9
	v_mov_b32_e32 v0, s9
	s_waitcnt vmcnt(0)
	v_add_co_u32_e32 v4, vcc, s8, v2
	v_addc_co_u32_e32 v5, vcc, v3, v0, vcc
	v_mov_b32_e32 v7, s4
	global_store_dwordx2 v[4:5], v[9:10], off
	v_mov_b32_e32 v8, s5
	s_waitcnt vmcnt(0)
	global_atomic_cmpswap_x2 v[2:3], v6, v[7:10], s[6:7] offset:24 glc
	s_mov_b64 s[8:9], 0
	s_waitcnt vmcnt(0)
	v_cmp_ne_u64_e32 vcc, v[2:3], v[9:10]
	s_and_b64 exec, exec, vcc
	s_cbranch_execz .LBB0_111
.LBB0_110:                              ; =>This Inner Loop Header: Depth=1
	s_sleep 1
	global_store_dwordx2 v[4:5], v[2:3], off
	v_mov_b32_e32 v0, s4
	v_mov_b32_e32 v1, s5
	s_waitcnt vmcnt(0)
	global_atomic_cmpswap_x2 v[0:1], v6, v[0:3], s[6:7] offset:24 glc
	s_waitcnt vmcnt(0)
	v_cmp_eq_u64_e32 vcc, v[0:1], v[2:3]
	v_mov_b32_e32 v3, v1
	s_or_b64 s[8:9], vcc, s[8:9]
	v_mov_b32_e32 v2, v0
	s_andn2_b64 exec, exec, s[8:9]
	s_cbranch_execnz .LBB0_110
.LBB0_111:
	s_or_b64 exec, exec, s[10:11]
	s_waitcnt vmcnt(0) lgkmcnt(0)
	s_setpc_b64 s[30:31]
.LBB0_112:
	s_cbranch_execnz .LBB0_86
.LBB0_113:
	s_waitcnt vmcnt(0) lgkmcnt(0)
	s_setpc_b64 s[30:31]
.Lfunc_end0:
	.size	__ockl_fprintf_append_string_n, .Lfunc_end0-__ockl_fprintf_append_string_n
                                        ; -- End function
	.set .L__ockl_fprintf_append_string_n.num_vgpr, 40
	.set .L__ockl_fprintf_append_string_n.num_agpr, 0
	.set .L__ockl_fprintf_append_string_n.numbered_sgpr, 32
	.set .L__ockl_fprintf_append_string_n.num_named_barrier, 0
	.set .L__ockl_fprintf_append_string_n.private_seg_size, 0
	.set .L__ockl_fprintf_append_string_n.uses_vcc, 1
	.set .L__ockl_fprintf_append_string_n.uses_flat_scratch, 0
	.set .L__ockl_fprintf_append_string_n.has_dyn_sized_stack, 0
	.set .L__ockl_fprintf_append_string_n.has_recursion, 0
	.set .L__ockl_fprintf_append_string_n.has_indirect_call, 0
	.section	.AMDGPU.csdata,"",@progbits
; Function info:
; codeLenInByte = 3900
; TotalNumSgprs: 36
; NumVgprs: 40
; ScratchSize: 0
; MemoryBound: 0
	.text
	.p2align	2                               ; -- Begin function __assert_fail
	.type	__assert_fail,@function
__assert_fail:                          ; @__assert_fail
; %bb.0:
	s_waitcnt vmcnt(0) expcnt(0) lgkmcnt(0)
	s_mov_b32 s25, s33
	s_mov_b32 s33, s32
	s_or_saveexec_b64 s[4:5], -1
	buffer_store_dword v40, off, s[0:3], s33 offset:48 ; 4-byte Folded Spill
	s_mov_b64 exec, s[4:5]
	v_writelane_b32 v40, s30, 0
	s_addk_i32 s32, 0x1000
	v_writelane_b32 v40, s31, 1
	v_mov_b32_e32 v8, 0
	s_getpc_b64 s[4:5]
	s_add_u32 s4, s4, __const.__assert_fail.fmt@rel32@lo+35
	s_addc_u32 s5, s5, __const.__assert_fail.fmt@rel32@hi+43
	v_mov_b32_e32 v5, v1
	v_mov_b32_e32 v4, v0
	global_load_dwordx4 v[0:3], v8, s[4:5]
	s_getpc_b64 s[16:17]
	s_add_u32 s16, s16, __const.__assert_fail.fmt@rel32@lo+4
	s_addc_u32 s17, s17, __const.__assert_fail.fmt@rel32@hi+12
	s_getpc_b64 s[18:19]
	s_add_u32 s18, s18, __const.__assert_fail.fmt@rel32@lo+20
	s_addc_u32 s19, s19, __const.__assert_fail.fmt@rel32@hi+28
	v_mbcnt_lo_u32_b32 v9, -1, 0
	s_load_dwordx4 s[4:7], s[16:17], 0x0
	s_load_dwordx4 s[12:15], s[18:19], 0x0
	s_load_dwordx2 s[10:11], s[8:9], 0x50
	v_mbcnt_hi_u32_b32 v34, -1, v9
	v_mov_b32_e32 v6, 0
	v_readfirstlane_b32 s16, v34
	v_mov_b32_e32 v7, 0
	s_waitcnt lgkmcnt(0)
	v_mov_b32_e32 v9, s7
	v_mov_b32_e32 v11, s5
	;; [unrolled: 1-line block ×3, first 2 shown]
	v_cmp_eq_u32_e64 s[4:5], s16, v34
	v_mov_b32_e32 v10, s6
	v_mov_b32_e32 v13, s15
	;; [unrolled: 1-line block ×5, first 2 shown]
	buffer_store_dword v9, off, s[0:3], s33 offset:12
	buffer_store_dword v10, off, s[0:3], s33 offset:8
	buffer_store_dword v11, off, s[0:3], s33 offset:4
	buffer_store_dword v12, off, s[0:3], s33
	buffer_store_dword v13, off, s[0:3], s33 offset:28
	buffer_store_dword v14, off, s[0:3], s33 offset:24
	;; [unrolled: 1-line block ×4, first 2 shown]
	s_waitcnt vmcnt(8)
	buffer_store_dword v3, off, s[0:3], s33 offset:43
	buffer_store_dword v2, off, s[0:3], s33 offset:39
	;; [unrolled: 1-line block ×4, first 2 shown]
	s_and_saveexec_b64 s[6:7], s[4:5]
	s_cbranch_execz .LBB1_6
; %bb.1:
	global_load_dwordx2 v[2:3], v8, s[10:11] offset:24 glc
	s_waitcnt vmcnt(0)
	buffer_wbinvl1_vol
	global_load_dwordx2 v[0:1], v8, s[10:11] offset:40
	global_load_dwordx2 v[6:7], v8, s[10:11]
	s_waitcnt vmcnt(1)
	v_and_b32_e32 v0, v0, v2
	v_and_b32_e32 v1, v1, v3
	v_mul_lo_u32 v1, v1, 24
	v_mul_hi_u32 v9, v0, 24
	v_mul_lo_u32 v0, v0, 24
	v_add_u32_e32 v1, v9, v1
	s_waitcnt vmcnt(0)
	v_add_co_u32_e32 v0, vcc, v6, v0
	v_addc_co_u32_e32 v1, vcc, v7, v1, vcc
	global_load_dwordx2 v[0:1], v[0:1], off glc
	s_waitcnt vmcnt(0)
	global_atomic_cmpswap_x2 v[6:7], v8, v[0:3], s[10:11] offset:24 glc
	s_waitcnt vmcnt(0)
	buffer_wbinvl1_vol
	v_cmp_ne_u64_e32 vcc, v[6:7], v[2:3]
	s_and_saveexec_b64 s[12:13], vcc
	s_cbranch_execz .LBB1_5
; %bb.2:
	s_mov_b64 s[14:15], 0
	v_mov_b32_e32 v0, 0
.LBB1_3:                                ; =>This Inner Loop Header: Depth=1
	s_sleep 1
	global_load_dwordx2 v[1:2], v0, s[10:11] offset:40
	global_load_dwordx2 v[9:10], v0, s[10:11]
	v_mov_b32_e32 v12, v7
	v_mov_b32_e32 v11, v6
	s_waitcnt vmcnt(1)
	v_and_b32_e32 v1, v1, v11
	s_waitcnt vmcnt(0)
	v_mad_u64_u32 v[6:7], s[16:17], v1, 24, v[9:10]
	v_and_b32_e32 v2, v2, v12
	v_mov_b32_e32 v1, v7
	v_mad_u64_u32 v[1:2], s[16:17], v2, 24, v[1:2]
	v_mov_b32_e32 v7, v1
	global_load_dwordx2 v[9:10], v[6:7], off glc
	s_waitcnt vmcnt(0)
	global_atomic_cmpswap_x2 v[6:7], v0, v[9:12], s[10:11] offset:24 glc
	s_waitcnt vmcnt(0)
	buffer_wbinvl1_vol
	v_cmp_eq_u64_e32 vcc, v[6:7], v[11:12]
	s_or_b64 s[14:15], vcc, s[14:15]
	s_andn2_b64 exec, exec, s[14:15]
	s_cbranch_execnz .LBB1_3
; %bb.4:
	s_or_b64 exec, exec, s[14:15]
.LBB1_5:
	s_or_b64 exec, exec, s[12:13]
.LBB1_6:
	s_or_b64 exec, exec, s[6:7]
	global_load_dwordx2 v[9:10], v8, s[10:11] offset:40
	global_load_dwordx4 v[0:3], v8, s[10:11]
	v_readfirstlane_b32 s7, v7
	v_readfirstlane_b32 s6, v6
	s_mov_b64 s[12:13], exec
	s_waitcnt vmcnt(1)
	v_readfirstlane_b32 s14, v9
	v_readfirstlane_b32 s15, v10
	s_and_b64 s[14:15], s[14:15], s[6:7]
	s_mul_i32 s16, s15, 24
	s_mul_hi_u32 s17, s14, 24
	s_mul_i32 s18, s14, 24
	s_add_i32 s16, s17, s16
	v_mov_b32_e32 v6, s16
	s_waitcnt vmcnt(0)
	v_add_co_u32_e32 v10, vcc, s18, v0
	v_addc_co_u32_e32 v11, vcc, v1, v6, vcc
	s_and_saveexec_b64 s[16:17], s[4:5]
	s_cbranch_execz .LBB1_8
; %bb.7:
	v_mov_b32_e32 v6, s12
	v_mov_b32_e32 v7, s13
	;; [unrolled: 1-line block ×4, first 2 shown]
	global_store_dwordx4 v[10:11], v[6:9], off offset:8
.LBB1_8:
	s_or_b64 exec, exec, s[16:17]
	s_lshl_b64 s[12:13], s[14:15], 12
	v_mov_b32_e32 v6, s13
	v_add_co_u32_e32 v2, vcc, s12, v2
	s_mov_b32 s12, 0
	v_addc_co_u32_e32 v3, vcc, v3, v6, vcc
	v_lshlrev_b32_e32 v35, 6, v34
	s_mov_b32 s15, s12
	v_mov_b32_e32 v7, 0
	v_add_co_u32_e32 v12, vcc, v2, v35
	s_mov_b32 s13, s12
	s_mov_b32 s14, s12
	v_mov_b32_e32 v17, s15
	v_addc_co_u32_e32 v13, vcc, 0, v3, vcc
	v_mov_b32_e32 v6, 33
	v_mov_b32_e32 v8, 1
	;; [unrolled: 1-line block ×3, first 2 shown]
	v_readfirstlane_b32 s16, v2
	v_readfirstlane_b32 s17, v3
	v_mov_b32_e32 v16, s14
	v_mov_b32_e32 v15, s13
	;; [unrolled: 1-line block ×3, first 2 shown]
	s_nop 1
	global_store_dwordx4 v35, v[6:9], s[16:17]
	global_store_dwordx4 v35, v[14:17], s[16:17] offset:16
	global_store_dwordx4 v35, v[14:17], s[16:17] offset:32
	;; [unrolled: 1-line block ×3, first 2 shown]
	s_and_saveexec_b64 s[12:13], s[4:5]
	s_cbranch_execz .LBB1_16
; %bb.9:
	global_load_dwordx2 v[16:17], v7, s[10:11] offset:32 glc
	global_load_dwordx2 v[2:3], v7, s[10:11] offset:40
	v_mov_b32_e32 v14, s6
	v_mov_b32_e32 v15, s7
	s_waitcnt vmcnt(0)
	v_and_b32_e32 v2, s6, v2
	v_and_b32_e32 v3, s7, v3
	v_mul_lo_u32 v3, v3, 24
	v_mul_hi_u32 v6, v2, 24
	v_mul_lo_u32 v2, v2, 24
	v_add_u32_e32 v3, v6, v3
	v_add_co_u32_e32 v8, vcc, v0, v2
	v_addc_co_u32_e32 v9, vcc, v1, v3, vcc
	global_store_dwordx2 v[8:9], v[16:17], off
	s_waitcnt vmcnt(0)
	global_atomic_cmpswap_x2 v[2:3], v7, v[14:17], s[10:11] offset:32 glc
	s_waitcnt vmcnt(0)
	v_cmp_ne_u64_e32 vcc, v[2:3], v[16:17]
	s_and_saveexec_b64 s[14:15], vcc
	s_cbranch_execz .LBB1_12
; %bb.10:
	s_mov_b64 s[16:17], 0
	v_mov_b32_e32 v6, 0
.LBB1_11:                               ; =>This Inner Loop Header: Depth=1
	s_sleep 1
	global_store_dwordx2 v[8:9], v[2:3], off
	v_mov_b32_e32 v0, s6
	v_mov_b32_e32 v1, s7
	s_waitcnt vmcnt(0)
	global_atomic_cmpswap_x2 v[0:1], v6, v[0:3], s[10:11] offset:32 glc
	s_waitcnt vmcnt(0)
	v_cmp_eq_u64_e32 vcc, v[0:1], v[2:3]
	v_mov_b32_e32 v3, v1
	s_or_b64 s[16:17], vcc, s[16:17]
	v_mov_b32_e32 v2, v0
	s_andn2_b64 exec, exec, s[16:17]
	s_cbranch_execnz .LBB1_11
.LBB1_12:
	s_or_b64 exec, exec, s[14:15]
	v_mov_b32_e32 v3, 0
	global_load_dwordx2 v[0:1], v3, s[10:11] offset:16
	s_mov_b64 s[14:15], exec
	v_mbcnt_lo_u32_b32 v2, s14, 0
	v_mbcnt_hi_u32_b32 v2, s15, v2
	v_cmp_eq_u32_e32 vcc, 0, v2
	s_and_saveexec_b64 s[16:17], vcc
	s_cbranch_execz .LBB1_14
; %bb.13:
	s_bcnt1_i32_b64 s14, s[14:15]
	v_mov_b32_e32 v2, s14
	s_waitcnt vmcnt(0)
	global_atomic_add_x2 v[0:1], v[2:3], off offset:8
.LBB1_14:
	s_or_b64 exec, exec, s[16:17]
	s_waitcnt vmcnt(0)
	global_load_dwordx2 v[2:3], v[0:1], off offset:16
	s_waitcnt vmcnt(0)
	v_cmp_eq_u64_e32 vcc, 0, v[2:3]
	s_cbranch_vccnz .LBB1_16
; %bb.15:
	global_load_dword v0, v[0:1], off offset:24
	v_mov_b32_e32 v1, 0
	s_waitcnt vmcnt(0)
	v_readfirstlane_b32 s14, v0
	s_and_b32 m0, s14, 0xffffff
	global_store_dwordx2 v[2:3], v[0:1], off
	s_sendmsg sendmsg(MSG_INTERRUPT)
.LBB1_16:
	s_or_b64 exec, exec, s[12:13]
	s_branch .LBB1_20
.LBB1_17:                               ;   in Loop: Header=BB1_20 Depth=1
	s_or_b64 exec, exec, s[12:13]
	v_readfirstlane_b32 s12, v0
	s_cmp_eq_u32 s12, 0
	s_cbranch_scc1 .LBB1_19
; %bb.18:                               ;   in Loop: Header=BB1_20 Depth=1
	s_sleep 1
	s_cbranch_execnz .LBB1_20
	s_branch .LBB1_22
.LBB1_19:
	s_branch .LBB1_22
.LBB1_20:                               ; =>This Inner Loop Header: Depth=1
	v_mov_b32_e32 v0, 1
	s_and_saveexec_b64 s[12:13], s[4:5]
	s_cbranch_execz .LBB1_17
; %bb.21:                               ;   in Loop: Header=BB1_20 Depth=1
	global_load_dword v0, v[10:11], off offset:20 glc
	s_waitcnt vmcnt(0)
	buffer_wbinvl1_vol
	v_and_b32_e32 v0, 1, v0
	s_branch .LBB1_17
.LBB1_22:
	global_load_dwordx2 v[6:7], v[12:13], off
	s_and_saveexec_b64 s[12:13], s[4:5]
	s_cbranch_execz .LBB1_25
; %bb.23:
	v_mov_b32_e32 v10, 0
	global_load_dwordx2 v[0:1], v10, s[10:11] offset:40
	global_load_dwordx2 v[13:14], v10, s[10:11] offset:24 glc
	global_load_dwordx2 v[2:3], v10, s[10:11]
	s_waitcnt vmcnt(2)
	v_readfirstlane_b32 s14, v0
	v_readfirstlane_b32 s15, v1
	s_add_u32 s16, s14, 1
	s_addc_u32 s17, s15, 0
	s_add_u32 s4, s16, s6
	s_addc_u32 s5, s17, s7
	s_cmp_eq_u64 s[4:5], 0
	s_cselect_b32 s5, s17, s5
	s_cselect_b32 s4, s16, s4
	s_and_b64 s[6:7], s[4:5], s[14:15]
	s_mul_i32 s7, s7, 24
	s_mul_hi_u32 s14, s6, 24
	s_mul_i32 s6, s6, 24
	s_add_i32 s7, s14, s7
	v_mov_b32_e32 v0, s7
	s_waitcnt vmcnt(0)
	v_add_co_u32_e32 v8, vcc, s6, v2
	v_addc_co_u32_e32 v9, vcc, v3, v0, vcc
	v_mov_b32_e32 v11, s4
	global_store_dwordx2 v[8:9], v[13:14], off
	v_mov_b32_e32 v12, s5
	s_waitcnt vmcnt(0)
	global_atomic_cmpswap_x2 v[2:3], v10, v[11:14], s[10:11] offset:24 glc
	s_mov_b64 s[6:7], 0
	s_waitcnt vmcnt(0)
	v_cmp_ne_u64_e32 vcc, v[2:3], v[13:14]
	s_and_b64 exec, exec, vcc
	s_cbranch_execz .LBB1_25
.LBB1_24:                               ; =>This Inner Loop Header: Depth=1
	s_sleep 1
	global_store_dwordx2 v[8:9], v[2:3], off
	v_mov_b32_e32 v0, s4
	v_mov_b32_e32 v1, s5
	s_waitcnt vmcnt(0)
	global_atomic_cmpswap_x2 v[0:1], v10, v[0:3], s[10:11] offset:24 glc
	s_waitcnt vmcnt(0)
	v_cmp_eq_u64_e32 vcc, v[0:1], v[2:3]
	v_mov_b32_e32 v3, v1
	s_or_b64 s[6:7], vcc, s[6:7]
	v_mov_b32_e32 v2, v0
	s_andn2_b64 exec, exec, s[6:7]
	s_cbranch_execnz .LBB1_24
.LBB1_25:
	s_or_b64 exec, exec, s[12:13]
	s_lshr_b32 s6, s33, 6
	s_mov_b64 s[4:5], 0
.LBB1_26:                               ; =>This Inner Loop Header: Depth=1
	v_mov_b32_e32 v0, s6
	buffer_load_ubyte v1, v0, s[0:3], 0 offen
	s_add_i32 s6, s6, 1
	v_mov_b32_e32 v0, s6
	s_waitcnt vmcnt(0)
	v_cmp_eq_u16_e32 vcc, 0, v1
	s_or_b64 s[4:5], vcc, s[4:5]
	s_andn2_b64 exec, exec, s[4:5]
	s_cbranch_execnz .LBB1_26
; %bb.27:
	s_or_b64 exec, exec, s[4:5]
	s_lshr_b32 s4, s33, 6
	s_cmp_lg_u32 s4, -1
	s_cbranch_scc0 .LBB1_112
; %bb.28:
	v_lshrrev_b32_e64 v1, 6, s33
	v_subrev_u32_e32 v28, v1, v0
	v_ashrrev_i32_e32 v29, 31, v28
	v_and_b32_e32 v36, 2, v6
	v_mov_b32_e32 v31, 0
	v_and_b32_e32 v0, -3, v6
	v_mov_b32_e32 v1, v7
	s_mov_b64 s[12:13], 0
	v_lshrrev_b32_e64 v37, 6, s33
	s_mov_b32 s20, 0
	s_movk_i32 s21, 0x1e0
	v_mov_b32_e32 v10, 2
	v_mov_b32_e32 v11, 1
	s_branch .LBB1_30
.LBB1_29:                               ;   in Loop: Header=BB1_30 Depth=1
	s_or_b64 exec, exec, s[6:7]
	v_sub_co_u32_e32 v28, vcc, v28, v38
	v_subb_co_u32_e32 v29, vcc, v29, v39, vcc
	v_cmp_eq_u64_e32 vcc, 0, v[28:29]
	v_add_u32_e32 v37, v37, v38
	s_or_b64 s[12:13], vcc, s[12:13]
	s_andn2_b64 exec, exec, s[12:13]
	s_cbranch_execz .LBB1_113
.LBB1_30:                               ; =>This Loop Header: Depth=1
                                        ;     Child Loop BB1_33 Depth 2
                                        ;     Child Loop BB1_41 Depth 2
	;; [unrolled: 1-line block ×11, first 2 shown]
	v_cmp_gt_u64_e32 vcc, 56, v[28:29]
	v_cmp_gt_u64_e64 s[4:5], 8, v[28:29]
	v_cndmask_b32_e32 v38, 56, v28, vcc
	v_add_u32_e32 v9, 8, v37
	s_and_saveexec_b64 s[6:7], s[4:5]
	s_xor_b64 s[6:7], exec, s[6:7]
	s_cbranch_execz .LBB1_36
; %bb.31:                               ;   in Loop: Header=BB1_30 Depth=1
	v_mov_b32_e32 v2, 0
	v_cmp_ne_u64_e64 s[4:5], 0, v[28:29]
	v_mov_b32_e32 v3, 0
	s_and_saveexec_b64 s[14:15], s[4:5]
	s_cbranch_execz .LBB1_35
; %bb.32:                               ;   in Loop: Header=BB1_30 Depth=1
	v_mov_b32_e32 v2, 0
	s_mov_b32 s22, 0
	s_mov_b64 s[16:17], 0
	v_mov_b32_e32 v3, 0
	s_mov_b64 s[18:19], 0
.LBB1_33:                               ;   Parent Loop BB1_30 Depth=1
                                        ; =>  This Inner Loop Header: Depth=2
	v_add_u32_e32 v8, s22, v37
	buffer_load_ubyte v8, v8, s[0:3], 0 offen
	v_mov_b32_e32 v9, s20
	s_add_i32 s22, s22, 1
	v_cmp_eq_u32_e64 s[4:5], s22, v38
	s_waitcnt vmcnt(0)
	v_and_b32_e32 v8, 0xffff, v8
	v_lshlrev_b64 v[8:9], s18, v[8:9]
	s_add_u32 s18, s18, 8
	s_addc_u32 s19, s19, 0
	v_or_b32_e32 v3, v9, v3
	s_or_b64 s[16:17], s[4:5], s[16:17]
	v_or_b32_e32 v2, v8, v2
	s_andn2_b64 exec, exec, s[16:17]
	s_cbranch_execnz .LBB1_33
; %bb.34:                               ;   in Loop: Header=BB1_30 Depth=1
	s_or_b64 exec, exec, s[16:17]
.LBB1_35:                               ;   in Loop: Header=BB1_30 Depth=1
	s_or_b64 exec, exec, s[14:15]
	v_mov_b32_e32 v9, v37
.LBB1_36:                               ;   in Loop: Header=BB1_30 Depth=1
	s_or_saveexec_b64 s[4:5], s[6:7]
	v_mov_b32_e32 v14, 0
	s_xor_b64 exec, exec, s[4:5]
	s_cbranch_execz .LBB1_38
; %bb.37:                               ;   in Loop: Header=BB1_30 Depth=1
	buffer_load_dword v2, v37, s[0:3], 0 offen
	buffer_load_dword v3, v37, s[0:3], 0 offen offset:4
	v_add_u32_e32 v14, -8, v38
.LBB1_38:                               ;   in Loop: Header=BB1_30 Depth=1
	s_or_b64 exec, exec, s[4:5]
	v_cmp_gt_u32_e64 s[4:5], 8, v14
	v_add_u32_e32 v8, 8, v9
                                        ; implicit-def: $vgpr12_vgpr13
	s_and_saveexec_b64 s[6:7], s[4:5]
	s_xor_b64 s[6:7], exec, s[6:7]
	s_cbranch_execz .LBB1_44
; %bb.39:                               ;   in Loop: Header=BB1_30 Depth=1
	v_mov_b32_e32 v12, 0
	v_mov_b32_e32 v13, 0
	v_cmp_ne_u32_e64 s[4:5], 0, v14
	s_and_saveexec_b64 s[14:15], s[4:5]
	s_cbranch_execz .LBB1_43
; %bb.40:                               ;   in Loop: Header=BB1_30 Depth=1
	v_mov_b32_e32 v12, 0
	s_mov_b32 s22, 0
	s_mov_b64 s[16:17], 0
	v_mov_b32_e32 v13, 0
	s_mov_b64 s[18:19], 0
.LBB1_41:                               ;   Parent Loop BB1_30 Depth=1
                                        ; =>  This Inner Loop Header: Depth=2
	v_add_u32_e32 v8, s22, v9
	buffer_load_ubyte v8, v8, s[0:3], 0 offen
	v_mov_b32_e32 v16, s20
	s_add_i32 s22, s22, 1
	v_cmp_eq_u32_e64 s[4:5], s22, v14
	s_waitcnt vmcnt(0)
	v_and_b32_e32 v15, 0xffff, v8
	v_lshlrev_b64 v[15:16], s18, v[15:16]
	s_add_u32 s18, s18, 8
	s_addc_u32 s19, s19, 0
	v_or_b32_e32 v13, v16, v13
	s_or_b64 s[16:17], s[4:5], s[16:17]
	v_or_b32_e32 v12, v15, v12
	s_andn2_b64 exec, exec, s[16:17]
	s_cbranch_execnz .LBB1_41
; %bb.42:                               ;   in Loop: Header=BB1_30 Depth=1
	s_or_b64 exec, exec, s[16:17]
.LBB1_43:                               ;   in Loop: Header=BB1_30 Depth=1
	s_or_b64 exec, exec, s[14:15]
	v_mov_b32_e32 v8, v9
                                        ; implicit-def: $vgpr14
.LBB1_44:                               ;   in Loop: Header=BB1_30 Depth=1
	s_or_saveexec_b64 s[4:5], s[6:7]
	v_mov_b32_e32 v16, 0
	s_xor_b64 exec, exec, s[4:5]
	s_cbranch_execz .LBB1_46
; %bb.45:                               ;   in Loop: Header=BB1_30 Depth=1
	buffer_load_dword v12, v9, s[0:3], 0 offen
	buffer_load_dword v13, v9, s[0:3], 0 offen offset:4
	v_add_u32_e32 v16, -8, v14
.LBB1_46:                               ;   in Loop: Header=BB1_30 Depth=1
	s_or_b64 exec, exec, s[4:5]
	v_cmp_gt_u32_e64 s[4:5], 8, v16
	v_add_u32_e32 v9, 8, v8
	s_and_saveexec_b64 s[6:7], s[4:5]
	s_xor_b64 s[6:7], exec, s[6:7]
	s_cbranch_execz .LBB1_52
; %bb.47:                               ;   in Loop: Header=BB1_30 Depth=1
	v_mov_b32_e32 v14, 0
	v_mov_b32_e32 v15, 0
	v_cmp_ne_u32_e64 s[4:5], 0, v16
	s_and_saveexec_b64 s[14:15], s[4:5]
	s_cbranch_execz .LBB1_51
; %bb.48:                               ;   in Loop: Header=BB1_30 Depth=1
	v_mov_b32_e32 v14, 0
	s_mov_b32 s22, 0
	s_mov_b64 s[16:17], 0
	v_mov_b32_e32 v15, 0
	s_mov_b64 s[18:19], 0
.LBB1_49:                               ;   Parent Loop BB1_30 Depth=1
                                        ; =>  This Inner Loop Header: Depth=2
	v_add_u32_e32 v9, s22, v8
	buffer_load_ubyte v9, v9, s[0:3], 0 offen
	v_mov_b32_e32 v18, s20
	s_add_i32 s22, s22, 1
	v_cmp_eq_u32_e64 s[4:5], s22, v16
	s_waitcnt vmcnt(0)
	v_and_b32_e32 v17, 0xffff, v9
	v_lshlrev_b64 v[17:18], s18, v[17:18]
	s_add_u32 s18, s18, 8
	s_addc_u32 s19, s19, 0
	v_or_b32_e32 v15, v18, v15
	s_or_b64 s[16:17], s[4:5], s[16:17]
	v_or_b32_e32 v14, v17, v14
	s_andn2_b64 exec, exec, s[16:17]
	s_cbranch_execnz .LBB1_49
; %bb.50:                               ;   in Loop: Header=BB1_30 Depth=1
	s_or_b64 exec, exec, s[16:17]
.LBB1_51:                               ;   in Loop: Header=BB1_30 Depth=1
	s_or_b64 exec, exec, s[14:15]
	v_mov_b32_e32 v9, v8
                                        ; implicit-def: $vgpr16
.LBB1_52:                               ;   in Loop: Header=BB1_30 Depth=1
	s_or_saveexec_b64 s[4:5], s[6:7]
	v_mov_b32_e32 v18, 0
	s_xor_b64 exec, exec, s[4:5]
	s_cbranch_execz .LBB1_54
; %bb.53:                               ;   in Loop: Header=BB1_30 Depth=1
	buffer_load_dword v14, v8, s[0:3], 0 offen
	buffer_load_dword v15, v8, s[0:3], 0 offen offset:4
	v_add_u32_e32 v18, -8, v16
.LBB1_54:                               ;   in Loop: Header=BB1_30 Depth=1
	s_or_b64 exec, exec, s[4:5]
	v_cmp_gt_u32_e64 s[4:5], 8, v18
	v_add_u32_e32 v8, 8, v9
                                        ; implicit-def: $vgpr16_vgpr17
	s_and_saveexec_b64 s[6:7], s[4:5]
	s_xor_b64 s[6:7], exec, s[6:7]
	s_cbranch_execz .LBB1_60
; %bb.55:                               ;   in Loop: Header=BB1_30 Depth=1
	v_mov_b32_e32 v16, 0
	v_mov_b32_e32 v17, 0
	v_cmp_ne_u32_e64 s[4:5], 0, v18
	s_and_saveexec_b64 s[14:15], s[4:5]
	s_cbranch_execz .LBB1_59
; %bb.56:                               ;   in Loop: Header=BB1_30 Depth=1
	v_mov_b32_e32 v16, 0
	s_mov_b32 s22, 0
	s_mov_b64 s[16:17], 0
	v_mov_b32_e32 v17, 0
	s_mov_b64 s[18:19], 0
.LBB1_57:                               ;   Parent Loop BB1_30 Depth=1
                                        ; =>  This Inner Loop Header: Depth=2
	v_add_u32_e32 v8, s22, v9
	buffer_load_ubyte v8, v8, s[0:3], 0 offen
	v_mov_b32_e32 v20, s20
	s_add_i32 s22, s22, 1
	v_cmp_eq_u32_e64 s[4:5], s22, v18
	s_waitcnt vmcnt(0)
	v_and_b32_e32 v19, 0xffff, v8
	v_lshlrev_b64 v[19:20], s18, v[19:20]
	s_add_u32 s18, s18, 8
	s_addc_u32 s19, s19, 0
	v_or_b32_e32 v17, v20, v17
	s_or_b64 s[16:17], s[4:5], s[16:17]
	v_or_b32_e32 v16, v19, v16
	s_andn2_b64 exec, exec, s[16:17]
	s_cbranch_execnz .LBB1_57
; %bb.58:                               ;   in Loop: Header=BB1_30 Depth=1
	s_or_b64 exec, exec, s[16:17]
.LBB1_59:                               ;   in Loop: Header=BB1_30 Depth=1
	s_or_b64 exec, exec, s[14:15]
	v_mov_b32_e32 v8, v9
                                        ; implicit-def: $vgpr18
.LBB1_60:                               ;   in Loop: Header=BB1_30 Depth=1
	s_or_saveexec_b64 s[4:5], s[6:7]
	v_mov_b32_e32 v20, 0
	s_xor_b64 exec, exec, s[4:5]
	s_cbranch_execz .LBB1_62
; %bb.61:                               ;   in Loop: Header=BB1_30 Depth=1
	buffer_load_dword v16, v9, s[0:3], 0 offen
	buffer_load_dword v17, v9, s[0:3], 0 offen offset:4
	v_add_u32_e32 v20, -8, v18
.LBB1_62:                               ;   in Loop: Header=BB1_30 Depth=1
	s_or_b64 exec, exec, s[4:5]
	v_cmp_gt_u32_e64 s[4:5], 8, v20
	v_add_u32_e32 v9, 8, v8
	s_and_saveexec_b64 s[6:7], s[4:5]
	s_xor_b64 s[6:7], exec, s[6:7]
	s_cbranch_execz .LBB1_68
; %bb.63:                               ;   in Loop: Header=BB1_30 Depth=1
	v_mov_b32_e32 v18, 0
	v_mov_b32_e32 v19, 0
	v_cmp_ne_u32_e64 s[4:5], 0, v20
	s_and_saveexec_b64 s[14:15], s[4:5]
	s_cbranch_execz .LBB1_67
; %bb.64:                               ;   in Loop: Header=BB1_30 Depth=1
	v_mov_b32_e32 v18, 0
	s_mov_b32 s22, 0
	s_mov_b64 s[16:17], 0
	v_mov_b32_e32 v19, 0
	s_mov_b64 s[18:19], 0
.LBB1_65:                               ;   Parent Loop BB1_30 Depth=1
                                        ; =>  This Inner Loop Header: Depth=2
	v_add_u32_e32 v9, s22, v8
	buffer_load_ubyte v9, v9, s[0:3], 0 offen
	v_mov_b32_e32 v22, s20
	s_add_i32 s22, s22, 1
	v_cmp_eq_u32_e64 s[4:5], s22, v20
	s_waitcnt vmcnt(0)
	v_and_b32_e32 v21, 0xffff, v9
	v_lshlrev_b64 v[21:22], s18, v[21:22]
	s_add_u32 s18, s18, 8
	s_addc_u32 s19, s19, 0
	v_or_b32_e32 v19, v22, v19
	s_or_b64 s[16:17], s[4:5], s[16:17]
	v_or_b32_e32 v18, v21, v18
	s_andn2_b64 exec, exec, s[16:17]
	s_cbranch_execnz .LBB1_65
; %bb.66:                               ;   in Loop: Header=BB1_30 Depth=1
	s_or_b64 exec, exec, s[16:17]
.LBB1_67:                               ;   in Loop: Header=BB1_30 Depth=1
	s_or_b64 exec, exec, s[14:15]
	v_mov_b32_e32 v9, v8
                                        ; implicit-def: $vgpr20
.LBB1_68:                               ;   in Loop: Header=BB1_30 Depth=1
	s_or_saveexec_b64 s[4:5], s[6:7]
	v_mov_b32_e32 v22, 0
	s_xor_b64 exec, exec, s[4:5]
	s_cbranch_execz .LBB1_70
; %bb.69:                               ;   in Loop: Header=BB1_30 Depth=1
	buffer_load_dword v18, v8, s[0:3], 0 offen
	buffer_load_dword v19, v8, s[0:3], 0 offen offset:4
	v_add_u32_e32 v22, -8, v20
.LBB1_70:                               ;   in Loop: Header=BB1_30 Depth=1
	s_or_b64 exec, exec, s[4:5]
	v_cmp_gt_u32_e64 s[4:5], 8, v22
	v_add_u32_e32 v8, 8, v9
                                        ; implicit-def: $vgpr20_vgpr21
	s_and_saveexec_b64 s[6:7], s[4:5]
	s_xor_b64 s[6:7], exec, s[6:7]
	s_cbranch_execz .LBB1_76
; %bb.71:                               ;   in Loop: Header=BB1_30 Depth=1
	v_mov_b32_e32 v20, 0
	v_mov_b32_e32 v21, 0
	v_cmp_ne_u32_e64 s[4:5], 0, v22
	s_and_saveexec_b64 s[14:15], s[4:5]
	s_cbranch_execz .LBB1_75
; %bb.72:                               ;   in Loop: Header=BB1_30 Depth=1
	v_mov_b32_e32 v20, 0
	s_mov_b32 s22, 0
	s_mov_b64 s[16:17], 0
	v_mov_b32_e32 v21, 0
	s_mov_b64 s[18:19], 0
.LBB1_73:                               ;   Parent Loop BB1_30 Depth=1
                                        ; =>  This Inner Loop Header: Depth=2
	v_add_u32_e32 v8, s22, v9
	buffer_load_ubyte v8, v8, s[0:3], 0 offen
	v_mov_b32_e32 v24, s20
	s_add_i32 s22, s22, 1
	v_cmp_eq_u32_e64 s[4:5], s22, v22
	s_waitcnt vmcnt(0)
	v_and_b32_e32 v23, 0xffff, v8
	v_lshlrev_b64 v[23:24], s18, v[23:24]
	s_add_u32 s18, s18, 8
	s_addc_u32 s19, s19, 0
	v_or_b32_e32 v21, v24, v21
	s_or_b64 s[16:17], s[4:5], s[16:17]
	v_or_b32_e32 v20, v23, v20
	s_andn2_b64 exec, exec, s[16:17]
	s_cbranch_execnz .LBB1_73
; %bb.74:                               ;   in Loop: Header=BB1_30 Depth=1
	s_or_b64 exec, exec, s[16:17]
.LBB1_75:                               ;   in Loop: Header=BB1_30 Depth=1
	s_or_b64 exec, exec, s[14:15]
	v_mov_b32_e32 v8, v9
                                        ; implicit-def: $vgpr22
.LBB1_76:                               ;   in Loop: Header=BB1_30 Depth=1
	s_or_saveexec_b64 s[4:5], s[6:7]
	v_mov_b32_e32 v24, 0
	s_xor_b64 exec, exec, s[4:5]
	s_cbranch_execz .LBB1_78
; %bb.77:                               ;   in Loop: Header=BB1_30 Depth=1
	buffer_load_dword v20, v9, s[0:3], 0 offen
	buffer_load_dword v21, v9, s[0:3], 0 offen offset:4
	v_add_u32_e32 v24, -8, v22
.LBB1_78:                               ;   in Loop: Header=BB1_30 Depth=1
	s_or_b64 exec, exec, s[4:5]
	v_cmp_gt_u32_e64 s[4:5], 8, v24
	s_and_saveexec_b64 s[6:7], s[4:5]
	s_xor_b64 s[6:7], exec, s[6:7]
	s_cbranch_execz .LBB1_84
; %bb.79:                               ;   in Loop: Header=BB1_30 Depth=1
	v_mov_b32_e32 v22, 0
	v_mov_b32_e32 v23, 0
	v_cmp_ne_u32_e64 s[4:5], 0, v24
	s_and_saveexec_b64 s[14:15], s[4:5]
	s_cbranch_execz .LBB1_83
; %bb.80:                               ;   in Loop: Header=BB1_30 Depth=1
	v_mov_b32_e32 v22, 0
	s_mov_b64 s[16:17], 0
	v_mov_b32_e32 v23, 0
	s_mov_b64 s[18:19], 0
.LBB1_81:                               ;   Parent Loop BB1_30 Depth=1
                                        ; =>  This Inner Loop Header: Depth=2
	buffer_load_ubyte v9, v8, s[0:3], 0 offen
	v_mov_b32_e32 v26, s20
	v_add_u32_e32 v24, -1, v24
	v_cmp_eq_u32_e64 s[4:5], 0, v24
	v_add_u32_e32 v8, 1, v8
	s_waitcnt vmcnt(0)
	v_and_b32_e32 v25, 0xffff, v9
	v_lshlrev_b64 v[25:26], s18, v[25:26]
	s_add_u32 s18, s18, 8
	s_addc_u32 s19, s19, 0
	v_or_b32_e32 v23, v26, v23
	s_or_b64 s[16:17], s[4:5], s[16:17]
	v_or_b32_e32 v22, v25, v22
	s_andn2_b64 exec, exec, s[16:17]
	s_cbranch_execnz .LBB1_81
; %bb.82:                               ;   in Loop: Header=BB1_30 Depth=1
	s_or_b64 exec, exec, s[16:17]
.LBB1_83:                               ;   in Loop: Header=BB1_30 Depth=1
	s_or_b64 exec, exec, s[14:15]
                                        ; implicit-def: $vgpr8
.LBB1_84:                               ;   in Loop: Header=BB1_30 Depth=1
	s_andn2_saveexec_b64 s[4:5], s[6:7]
	s_cbranch_execz .LBB1_86
; %bb.85:                               ;   in Loop: Header=BB1_30 Depth=1
	buffer_load_dword v22, v8, s[0:3], 0 offen
	buffer_load_dword v23, v8, s[0:3], 0 offen offset:4
.LBB1_86:                               ;   in Loop: Header=BB1_30 Depth=1
	s_or_b64 exec, exec, s[4:5]
	v_readfirstlane_b32 s4, v34
	v_mov_b32_e32 v8, 0
	v_mov_b32_e32 v9, 0
	v_cmp_eq_u32_e64 s[4:5], s4, v34
	s_and_saveexec_b64 s[14:15], s[4:5]
	s_cbranch_execz .LBB1_92
; %bb.87:                               ;   in Loop: Header=BB1_30 Depth=1
	global_load_dwordx2 v[26:27], v31, s[10:11] offset:24 glc
	s_waitcnt vmcnt(0)
	buffer_wbinvl1_vol
	global_load_dwordx2 v[8:9], v31, s[10:11] offset:40
	global_load_dwordx2 v[24:25], v31, s[10:11]
	s_waitcnt vmcnt(1)
	v_and_b32_e32 v8, v8, v26
	v_and_b32_e32 v9, v9, v27
	v_mul_lo_u32 v9, v9, 24
	v_mul_hi_u32 v30, v8, 24
	v_mul_lo_u32 v8, v8, 24
	v_add_u32_e32 v9, v30, v9
	s_waitcnt vmcnt(0)
	v_add_co_u32_e64 v8, s[6:7], v24, v8
	v_addc_co_u32_e64 v9, s[6:7], v25, v9, s[6:7]
	global_load_dwordx2 v[24:25], v[8:9], off glc
	s_waitcnt vmcnt(0)
	global_atomic_cmpswap_x2 v[8:9], v31, v[24:27], s[10:11] offset:24 glc
	s_waitcnt vmcnt(0)
	buffer_wbinvl1_vol
	v_cmp_ne_u64_e64 s[6:7], v[8:9], v[26:27]
	s_and_saveexec_b64 s[16:17], s[6:7]
	s_cbranch_execz .LBB1_91
; %bb.88:                               ;   in Loop: Header=BB1_30 Depth=1
	s_mov_b64 s[18:19], 0
.LBB1_89:                               ;   Parent Loop BB1_30 Depth=1
                                        ; =>  This Inner Loop Header: Depth=2
	s_sleep 1
	global_load_dwordx2 v[24:25], v31, s[10:11] offset:40
	global_load_dwordx2 v[32:33], v31, s[10:11]
	v_mov_b32_e32 v27, v9
	v_mov_b32_e32 v26, v8
	s_waitcnt vmcnt(1)
	v_and_b32_e32 v8, v24, v26
	s_waitcnt vmcnt(0)
	v_mad_u64_u32 v[8:9], s[6:7], v8, 24, v[32:33]
	v_and_b32_e32 v24, v25, v27
	v_mad_u64_u32 v[24:25], s[6:7], v24, 24, v[9:10]
	v_mov_b32_e32 v9, v24
	global_load_dwordx2 v[24:25], v[8:9], off glc
	s_waitcnt vmcnt(0)
	global_atomic_cmpswap_x2 v[8:9], v31, v[24:27], s[10:11] offset:24 glc
	s_waitcnt vmcnt(0)
	buffer_wbinvl1_vol
	v_cmp_eq_u64_e64 s[6:7], v[8:9], v[26:27]
	s_or_b64 s[18:19], s[6:7], s[18:19]
	s_andn2_b64 exec, exec, s[18:19]
	s_cbranch_execnz .LBB1_89
; %bb.90:                               ;   in Loop: Header=BB1_30 Depth=1
	s_or_b64 exec, exec, s[18:19]
.LBB1_91:                               ;   in Loop: Header=BB1_30 Depth=1
	s_or_b64 exec, exec, s[16:17]
.LBB1_92:                               ;   in Loop: Header=BB1_30 Depth=1
	s_or_b64 exec, exec, s[14:15]
	global_load_dwordx2 v[32:33], v31, s[10:11] offset:40
	global_load_dwordx4 v[24:27], v31, s[10:11]
	v_readfirstlane_b32 s15, v9
	v_readfirstlane_b32 s14, v8
	s_mov_b64 s[16:17], exec
	s_waitcnt vmcnt(1)
	v_readfirstlane_b32 s6, v32
	v_readfirstlane_b32 s7, v33
	s_and_b64 s[18:19], s[6:7], s[14:15]
	s_mul_i32 s6, s19, 24
	s_mul_hi_u32 s7, s18, 24
	s_mul_i32 s22, s18, 24
	s_add_i32 s6, s7, s6
	v_mov_b32_e32 v8, s6
	s_waitcnt vmcnt(0)
	v_add_co_u32_e64 v32, s[6:7], s22, v24
	v_addc_co_u32_e64 v33, s[6:7], v25, v8, s[6:7]
	s_and_saveexec_b64 s[6:7], s[4:5]
	s_cbranch_execz .LBB1_94
; %bb.93:                               ;   in Loop: Header=BB1_30 Depth=1
	v_mov_b32_e32 v8, s16
	v_mov_b32_e32 v9, s17
	global_store_dwordx4 v[32:33], v[8:11], off offset:8
.LBB1_94:                               ;   in Loop: Header=BB1_30 Depth=1
	s_or_b64 exec, exec, s[6:7]
	s_lshl_b64 s[6:7], s[18:19], 12
	v_cndmask_b32_e32 v39, 0, v29, vcc
	v_mov_b32_e32 v8, s7
	v_add_co_u32_e32 v26, vcc, s6, v26
	v_addc_co_u32_e32 v27, vcc, v27, v8, vcc
	v_cmp_gt_u64_e32 vcc, 57, v[28:29]
	v_and_b32_e32 v0, 0xffffff1f, v0
	v_cndmask_b32_e32 v8, 0, v36, vcc
	v_lshl_add_u32 v9, v38, 2, 28
	v_or_b32_e32 v0, v0, v8
	v_and_or_b32 v0, v9, s21, v0
	v_readfirstlane_b32 s6, v26
	v_readfirstlane_b32 s7, v27
	s_nop 4
	global_store_dwordx4 v35, v[0:3], s[6:7]
	global_store_dwordx4 v35, v[12:15], s[6:7] offset:16
	global_store_dwordx4 v35, v[16:19], s[6:7] offset:32
	global_store_dwordx4 v35, v[20:23], s[6:7] offset:48
	s_and_saveexec_b64 s[6:7], s[4:5]
	s_cbranch_execz .LBB1_102
; %bb.95:                               ;   in Loop: Header=BB1_30 Depth=1
	global_load_dwordx2 v[14:15], v31, s[10:11] offset:32 glc
	global_load_dwordx2 v[0:1], v31, s[10:11] offset:40
	v_mov_b32_e32 v12, s14
	v_mov_b32_e32 v13, s15
	s_waitcnt vmcnt(0)
	v_readfirstlane_b32 s16, v0
	v_readfirstlane_b32 s17, v1
	s_and_b64 s[16:17], s[16:17], s[14:15]
	s_mul_i32 s17, s17, 24
	s_mul_hi_u32 s18, s16, 24
	s_mul_i32 s16, s16, 24
	s_add_i32 s17, s18, s17
	v_mov_b32_e32 v0, s17
	v_add_co_u32_e32 v8, vcc, s16, v24
	v_addc_co_u32_e32 v9, vcc, v25, v0, vcc
	global_store_dwordx2 v[8:9], v[14:15], off
	s_waitcnt vmcnt(0)
	global_atomic_cmpswap_x2 v[2:3], v31, v[12:15], s[10:11] offset:32 glc
	s_waitcnt vmcnt(0)
	v_cmp_ne_u64_e32 vcc, v[2:3], v[14:15]
	s_and_saveexec_b64 s[16:17], vcc
	s_cbranch_execz .LBB1_98
; %bb.96:                               ;   in Loop: Header=BB1_30 Depth=1
	s_mov_b64 s[18:19], 0
.LBB1_97:                               ;   Parent Loop BB1_30 Depth=1
                                        ; =>  This Inner Loop Header: Depth=2
	s_sleep 1
	global_store_dwordx2 v[8:9], v[2:3], off
	v_mov_b32_e32 v0, s14
	v_mov_b32_e32 v1, s15
	s_waitcnt vmcnt(0)
	global_atomic_cmpswap_x2 v[0:1], v31, v[0:3], s[10:11] offset:32 glc
	s_waitcnt vmcnt(0)
	v_cmp_eq_u64_e32 vcc, v[0:1], v[2:3]
	v_mov_b32_e32 v3, v1
	s_or_b64 s[18:19], vcc, s[18:19]
	v_mov_b32_e32 v2, v0
	s_andn2_b64 exec, exec, s[18:19]
	s_cbranch_execnz .LBB1_97
.LBB1_98:                               ;   in Loop: Header=BB1_30 Depth=1
	s_or_b64 exec, exec, s[16:17]
	global_load_dwordx2 v[0:1], v31, s[10:11] offset:16
	s_mov_b64 s[18:19], exec
	v_mbcnt_lo_u32_b32 v2, s18, 0
	v_mbcnt_hi_u32_b32 v2, s19, v2
	v_cmp_eq_u32_e32 vcc, 0, v2
	s_and_saveexec_b64 s[16:17], vcc
	s_cbranch_execz .LBB1_100
; %bb.99:                               ;   in Loop: Header=BB1_30 Depth=1
	s_bcnt1_i32_b64 s18, s[18:19]
	v_mov_b32_e32 v30, s18
	s_waitcnt vmcnt(0)
	global_atomic_add_x2 v[0:1], v[30:31], off offset:8
.LBB1_100:                              ;   in Loop: Header=BB1_30 Depth=1
	s_or_b64 exec, exec, s[16:17]
	s_waitcnt vmcnt(0)
	global_load_dwordx2 v[2:3], v[0:1], off offset:16
	s_waitcnt vmcnt(0)
	v_cmp_eq_u64_e32 vcc, 0, v[2:3]
	s_cbranch_vccnz .LBB1_102
; %bb.101:                              ;   in Loop: Header=BB1_30 Depth=1
	global_load_dword v30, v[0:1], off offset:24
	s_waitcnt vmcnt(0)
	v_readfirstlane_b32 s16, v30
	s_and_b32 m0, s16, 0xffffff
	global_store_dwordx2 v[2:3], v[30:31], off
	s_sendmsg sendmsg(MSG_INTERRUPT)
.LBB1_102:                              ;   in Loop: Header=BB1_30 Depth=1
	s_or_b64 exec, exec, s[6:7]
	v_add_co_u32_e32 v0, vcc, v26, v35
	v_addc_co_u32_e32 v1, vcc, 0, v27, vcc
	s_branch .LBB1_106
.LBB1_103:                              ;   in Loop: Header=BB1_106 Depth=2
	s_or_b64 exec, exec, s[6:7]
	v_readfirstlane_b32 s6, v2
	s_cmp_eq_u32 s6, 0
	s_cbranch_scc1 .LBB1_105
; %bb.104:                              ;   in Loop: Header=BB1_106 Depth=2
	s_sleep 1
	s_cbranch_execnz .LBB1_106
	s_branch .LBB1_108
.LBB1_105:                              ;   in Loop: Header=BB1_30 Depth=1
	s_branch .LBB1_108
.LBB1_106:                              ;   Parent Loop BB1_30 Depth=1
                                        ; =>  This Inner Loop Header: Depth=2
	v_mov_b32_e32 v2, 1
	s_and_saveexec_b64 s[6:7], s[4:5]
	s_cbranch_execz .LBB1_103
; %bb.107:                              ;   in Loop: Header=BB1_106 Depth=2
	global_load_dword v2, v[32:33], off offset:20 glc
	s_waitcnt vmcnt(0)
	buffer_wbinvl1_vol
	v_and_b32_e32 v2, 1, v2
	s_branch .LBB1_103
.LBB1_108:                              ;   in Loop: Header=BB1_30 Depth=1
	global_load_dwordx2 v[0:1], v[0:1], off
	s_and_saveexec_b64 s[6:7], s[4:5]
	s_cbranch_execz .LBB1_29
; %bb.109:                              ;   in Loop: Header=BB1_30 Depth=1
	global_load_dwordx2 v[2:3], v31, s[10:11] offset:40
	global_load_dwordx2 v[16:17], v31, s[10:11] offset:24 glc
	global_load_dwordx2 v[8:9], v31, s[10:11]
	s_waitcnt vmcnt(2)
	v_readfirstlane_b32 s16, v2
	v_readfirstlane_b32 s17, v3
	s_add_u32 s18, s16, 1
	s_addc_u32 s19, s17, 0
	s_add_u32 s4, s18, s14
	s_addc_u32 s5, s19, s15
	s_cmp_eq_u64 s[4:5], 0
	s_cselect_b32 s5, s19, s5
	s_cselect_b32 s4, s18, s4
	s_and_b64 s[14:15], s[4:5], s[16:17]
	s_mul_i32 s15, s15, 24
	s_mul_hi_u32 s16, s14, 24
	s_mul_i32 s14, s14, 24
	s_add_i32 s15, s16, s15
	v_mov_b32_e32 v3, s15
	s_waitcnt vmcnt(0)
	v_add_co_u32_e32 v2, vcc, s14, v8
	v_addc_co_u32_e32 v3, vcc, v9, v3, vcc
	v_mov_b32_e32 v14, s4
	global_store_dwordx2 v[2:3], v[16:17], off
	v_mov_b32_e32 v15, s5
	s_waitcnt vmcnt(0)
	global_atomic_cmpswap_x2 v[14:15], v31, v[14:17], s[10:11] offset:24 glc
	s_waitcnt vmcnt(0)
	v_cmp_ne_u64_e32 vcc, v[14:15], v[16:17]
	s_and_b64 exec, exec, vcc
	s_cbranch_execz .LBB1_29
; %bb.110:                              ;   in Loop: Header=BB1_30 Depth=1
	s_mov_b64 s[14:15], 0
.LBB1_111:                              ;   Parent Loop BB1_30 Depth=1
                                        ; =>  This Inner Loop Header: Depth=2
	s_sleep 1
	global_store_dwordx2 v[2:3], v[14:15], off
	v_mov_b32_e32 v12, s4
	v_mov_b32_e32 v13, s5
	s_waitcnt vmcnt(0)
	global_atomic_cmpswap_x2 v[8:9], v31, v[12:15], s[10:11] offset:24 glc
	s_waitcnt vmcnt(0)
	v_cmp_eq_u64_e32 vcc, v[8:9], v[14:15]
	v_mov_b32_e32 v15, v9
	s_or_b64 s[14:15], vcc, s[14:15]
	v_mov_b32_e32 v14, v8
	s_andn2_b64 exec, exec, s[14:15]
	s_cbranch_execnz .LBB1_111
	s_branch .LBB1_29
.LBB1_112:
                                        ; implicit-def: $vgpr0_vgpr1
	s_cbranch_execnz .LBB1_114
	s_branch .LBB1_140
.LBB1_113:
	s_or_b64 exec, exec, s[12:13]
	s_branch .LBB1_140
.LBB1_114:
	v_readfirstlane_b32 s4, v34
	v_mov_b32_e32 v9, 0
	v_mov_b32_e32 v10, 0
	v_cmp_eq_u32_e64 s[4:5], s4, v34
	s_and_saveexec_b64 s[6:7], s[4:5]
	s_cbranch_execz .LBB1_120
; %bb.115:
	s_waitcnt vmcnt(0)
	v_mov_b32_e32 v0, 0
	global_load_dwordx2 v[11:12], v0, s[10:11] offset:24 glc
	s_waitcnt vmcnt(0)
	buffer_wbinvl1_vol
	global_load_dwordx2 v[1:2], v0, s[10:11] offset:40
	global_load_dwordx2 v[8:9], v0, s[10:11]
	s_waitcnt vmcnt(1)
	v_and_b32_e32 v1, v1, v11
	v_and_b32_e32 v2, v2, v12
	v_mul_lo_u32 v2, v2, 24
	v_mul_hi_u32 v3, v1, 24
	v_mul_lo_u32 v1, v1, 24
	v_add_u32_e32 v2, v3, v2
	s_waitcnt vmcnt(0)
	v_add_co_u32_e32 v1, vcc, v8, v1
	v_addc_co_u32_e32 v2, vcc, v9, v2, vcc
	global_load_dwordx2 v[9:10], v[1:2], off glc
	s_waitcnt vmcnt(0)
	global_atomic_cmpswap_x2 v[9:10], v0, v[9:12], s[10:11] offset:24 glc
	s_waitcnt vmcnt(0)
	buffer_wbinvl1_vol
	v_cmp_ne_u64_e32 vcc, v[9:10], v[11:12]
	s_and_saveexec_b64 s[12:13], vcc
	s_cbranch_execz .LBB1_119
; %bb.116:
	s_mov_b64 s[14:15], 0
.LBB1_117:                              ; =>This Inner Loop Header: Depth=1
	s_sleep 1
	global_load_dwordx2 v[1:2], v0, s[10:11] offset:40
	global_load_dwordx2 v[13:14], v0, s[10:11]
	v_mov_b32_e32 v12, v10
	v_mov_b32_e32 v11, v9
	s_waitcnt vmcnt(1)
	v_and_b32_e32 v1, v1, v11
	s_waitcnt vmcnt(0)
	v_mad_u64_u32 v[8:9], s[16:17], v1, 24, v[13:14]
	v_and_b32_e32 v2, v2, v12
	v_mov_b32_e32 v1, v9
	v_mad_u64_u32 v[1:2], s[16:17], v2, 24, v[1:2]
	v_mov_b32_e32 v9, v1
	global_load_dwordx2 v[9:10], v[8:9], off glc
	s_waitcnt vmcnt(0)
	global_atomic_cmpswap_x2 v[9:10], v0, v[9:12], s[10:11] offset:24 glc
	s_waitcnt vmcnt(0)
	buffer_wbinvl1_vol
	v_cmp_eq_u64_e32 vcc, v[9:10], v[11:12]
	s_or_b64 s[14:15], vcc, s[14:15]
	s_andn2_b64 exec, exec, s[14:15]
	s_cbranch_execnz .LBB1_117
; %bb.118:
	s_or_b64 exec, exec, s[14:15]
.LBB1_119:
	s_or_b64 exec, exec, s[12:13]
.LBB1_120:
	s_or_b64 exec, exec, s[6:7]
	v_mov_b32_e32 v8, 0
	global_load_dwordx2 v[11:12], v8, s[10:11] offset:40
	global_load_dwordx4 v[0:3], v8, s[10:11]
	v_readfirstlane_b32 s7, v10
	v_readfirstlane_b32 s6, v9
	s_mov_b64 s[12:13], exec
	s_waitcnt vmcnt(1)
	v_readfirstlane_b32 s14, v11
	v_readfirstlane_b32 s15, v12
	s_and_b64 s[14:15], s[14:15], s[6:7]
	s_mul_i32 s16, s15, 24
	s_mul_hi_u32 s17, s14, 24
	s_mul_i32 s18, s14, 24
	s_add_i32 s16, s17, s16
	v_mov_b32_e32 v9, s16
	s_waitcnt vmcnt(0)
	v_add_co_u32_e32 v10, vcc, s18, v0
	v_addc_co_u32_e32 v11, vcc, v1, v9, vcc
	s_and_saveexec_b64 s[16:17], s[4:5]
	s_cbranch_execz .LBB1_122
; %bb.121:
	v_mov_b32_e32 v12, s12
	v_mov_b32_e32 v13, s13
	;; [unrolled: 1-line block ×4, first 2 shown]
	global_store_dwordx4 v[10:11], v[12:15], off offset:8
.LBB1_122:
	s_or_b64 exec, exec, s[16:17]
	s_lshl_b64 s[12:13], s[14:15], 12
	v_mov_b32_e32 v9, s13
	v_add_co_u32_e32 v2, vcc, s12, v2
	v_addc_co_u32_e32 v3, vcc, v3, v9, vcc
	s_movk_i32 s12, 0xff1f
	v_and_or_b32 v6, v6, s12, 32
	s_mov_b32 s12, 0
	v_mov_b32_e32 v9, v8
	v_readfirstlane_b32 s16, v2
	v_readfirstlane_b32 s17, v3
	v_add_co_u32_e32 v12, vcc, v2, v35
	s_mov_b32 s13, s12
	s_mov_b32 s14, s12
	;; [unrolled: 1-line block ×3, first 2 shown]
	s_nop 0
	global_store_dwordx4 v35, v[6:9], s[16:17]
	v_addc_co_u32_e32 v13, vcc, 0, v3, vcc
	v_mov_b32_e32 v6, s12
	v_mov_b32_e32 v7, s13
	;; [unrolled: 1-line block ×4, first 2 shown]
	global_store_dwordx4 v35, v[6:9], s[16:17] offset:16
	global_store_dwordx4 v35, v[6:9], s[16:17] offset:32
	;; [unrolled: 1-line block ×3, first 2 shown]
	s_and_saveexec_b64 s[12:13], s[4:5]
	s_cbranch_execz .LBB1_130
; %bb.123:
	v_mov_b32_e32 v8, 0
	global_load_dwordx2 v[16:17], v8, s[10:11] offset:32 glc
	global_load_dwordx2 v[2:3], v8, s[10:11] offset:40
	v_mov_b32_e32 v14, s6
	v_mov_b32_e32 v15, s7
	s_waitcnt vmcnt(0)
	v_readfirstlane_b32 s14, v2
	v_readfirstlane_b32 s15, v3
	s_and_b64 s[14:15], s[14:15], s[6:7]
	s_mul_i32 s15, s15, 24
	s_mul_hi_u32 s16, s14, 24
	s_mul_i32 s14, s14, 24
	s_add_i32 s15, s16, s15
	v_mov_b32_e32 v2, s15
	v_add_co_u32_e32 v6, vcc, s14, v0
	v_addc_co_u32_e32 v7, vcc, v1, v2, vcc
	global_store_dwordx2 v[6:7], v[16:17], off
	s_waitcnt vmcnt(0)
	global_atomic_cmpswap_x2 v[2:3], v8, v[14:17], s[10:11] offset:32 glc
	s_waitcnt vmcnt(0)
	v_cmp_ne_u64_e32 vcc, v[2:3], v[16:17]
	s_and_saveexec_b64 s[14:15], vcc
	s_cbranch_execz .LBB1_126
; %bb.124:
	s_mov_b64 s[16:17], 0
.LBB1_125:                              ; =>This Inner Loop Header: Depth=1
	s_sleep 1
	global_store_dwordx2 v[6:7], v[2:3], off
	v_mov_b32_e32 v0, s6
	v_mov_b32_e32 v1, s7
	s_waitcnt vmcnt(0)
	global_atomic_cmpswap_x2 v[0:1], v8, v[0:3], s[10:11] offset:32 glc
	s_waitcnt vmcnt(0)
	v_cmp_eq_u64_e32 vcc, v[0:1], v[2:3]
	v_mov_b32_e32 v3, v1
	s_or_b64 s[16:17], vcc, s[16:17]
	v_mov_b32_e32 v2, v0
	s_andn2_b64 exec, exec, s[16:17]
	s_cbranch_execnz .LBB1_125
.LBB1_126:
	s_or_b64 exec, exec, s[14:15]
	v_mov_b32_e32 v3, 0
	global_load_dwordx2 v[0:1], v3, s[10:11] offset:16
	s_mov_b64 s[14:15], exec
	v_mbcnt_lo_u32_b32 v2, s14, 0
	v_mbcnt_hi_u32_b32 v2, s15, v2
	v_cmp_eq_u32_e32 vcc, 0, v2
	s_and_saveexec_b64 s[16:17], vcc
	s_cbranch_execz .LBB1_128
; %bb.127:
	s_bcnt1_i32_b64 s14, s[14:15]
	v_mov_b32_e32 v2, s14
	s_waitcnt vmcnt(0)
	global_atomic_add_x2 v[0:1], v[2:3], off offset:8
.LBB1_128:
	s_or_b64 exec, exec, s[16:17]
	s_waitcnt vmcnt(0)
	global_load_dwordx2 v[2:3], v[0:1], off offset:16
	s_waitcnt vmcnt(0)
	v_cmp_eq_u64_e32 vcc, 0, v[2:3]
	s_cbranch_vccnz .LBB1_130
; %bb.129:
	global_load_dword v0, v[0:1], off offset:24
	v_mov_b32_e32 v1, 0
	s_waitcnt vmcnt(0)
	v_readfirstlane_b32 s14, v0
	s_and_b32 m0, s14, 0xffffff
	global_store_dwordx2 v[2:3], v[0:1], off
	s_sendmsg sendmsg(MSG_INTERRUPT)
.LBB1_130:
	s_or_b64 exec, exec, s[12:13]
	s_branch .LBB1_134
.LBB1_131:                              ;   in Loop: Header=BB1_134 Depth=1
	s_or_b64 exec, exec, s[12:13]
	v_readfirstlane_b32 s12, v0
	s_cmp_eq_u32 s12, 0
	s_cbranch_scc1 .LBB1_133
; %bb.132:                              ;   in Loop: Header=BB1_134 Depth=1
	s_sleep 1
	s_cbranch_execnz .LBB1_134
	s_branch .LBB1_136
.LBB1_133:
	s_branch .LBB1_136
.LBB1_134:                              ; =>This Inner Loop Header: Depth=1
	v_mov_b32_e32 v0, 1
	s_and_saveexec_b64 s[12:13], s[4:5]
	s_cbranch_execz .LBB1_131
; %bb.135:                              ;   in Loop: Header=BB1_134 Depth=1
	global_load_dword v0, v[10:11], off offset:20 glc
	s_waitcnt vmcnt(0)
	buffer_wbinvl1_vol
	v_and_b32_e32 v0, 1, v0
	s_branch .LBB1_131
.LBB1_136:
	global_load_dwordx2 v[0:1], v[12:13], off
	s_and_saveexec_b64 s[12:13], s[4:5]
	s_cbranch_execz .LBB1_139
; %bb.137:
	v_mov_b32_e32 v10, 0
	global_load_dwordx2 v[2:3], v10, s[10:11] offset:40
	global_load_dwordx2 v[13:14], v10, s[10:11] offset:24 glc
	global_load_dwordx2 v[6:7], v10, s[10:11]
	s_waitcnt vmcnt(2)
	v_readfirstlane_b32 s14, v2
	v_readfirstlane_b32 s15, v3
	s_add_u32 s16, s14, 1
	s_addc_u32 s17, s15, 0
	s_add_u32 s4, s16, s6
	s_addc_u32 s5, s17, s7
	s_cmp_eq_u64 s[4:5], 0
	s_cselect_b32 s5, s17, s5
	s_cselect_b32 s4, s16, s4
	s_and_b64 s[6:7], s[4:5], s[14:15]
	s_mul_i32 s7, s7, 24
	s_mul_hi_u32 s14, s6, 24
	s_mul_i32 s6, s6, 24
	s_add_i32 s7, s14, s7
	v_mov_b32_e32 v3, s7
	s_waitcnt vmcnt(0)
	v_add_co_u32_e32 v2, vcc, s6, v6
	v_addc_co_u32_e32 v3, vcc, v7, v3, vcc
	v_mov_b32_e32 v11, s4
	global_store_dwordx2 v[2:3], v[13:14], off
	v_mov_b32_e32 v12, s5
	s_waitcnt vmcnt(0)
	global_atomic_cmpswap_x2 v[8:9], v10, v[11:14], s[10:11] offset:24 glc
	s_mov_b64 s[6:7], 0
	s_waitcnt vmcnt(0)
	v_cmp_ne_u64_e32 vcc, v[8:9], v[13:14]
	s_and_b64 exec, exec, vcc
	s_cbranch_execz .LBB1_139
.LBB1_138:                              ; =>This Inner Loop Header: Depth=1
	s_sleep 1
	global_store_dwordx2 v[2:3], v[8:9], off
	v_mov_b32_e32 v6, s4
	v_mov_b32_e32 v7, s5
	s_waitcnt vmcnt(0)
	global_atomic_cmpswap_x2 v[6:7], v10, v[6:9], s[10:11] offset:24 glc
	s_waitcnt vmcnt(0)
	v_cmp_eq_u64_e32 vcc, v[6:7], v[8:9]
	v_mov_b32_e32 v9, v7
	s_or_b64 s[6:7], vcc, s[6:7]
	v_mov_b32_e32 v8, v6
	s_andn2_b64 exec, exec, s[6:7]
	s_cbranch_execnz .LBB1_138
.LBB1_139:
	s_or_b64 exec, exec, s[12:13]
.LBB1_140:
	v_mov_b32_e32 v2, 0
	s_getpc_b64 s[4:5]
	s_add_u32 s4, s4, .str.1@rel32@lo+4
	s_addc_u32 s5, s5, .str.1@rel32@hi+12
.LBB1_141:                              ; =>This Inner Loop Header: Depth=1
	global_load_ubyte v3, v2, s[4:5]
	s_add_u32 s12, s4, 1
	s_addc_u32 s13, s5, 0
	s_mov_b64 s[4:5], s[12:13]
	s_waitcnt vmcnt(0)
	v_cmp_ne_u32_e32 vcc, 0, v3
	s_cbranch_vccnz .LBB1_141
; %bb.142:
	s_getpc_b64 s[6:7]
	s_add_u32 s6, s6, .str.1@rel32@lo+4
	s_addc_u32 s7, s7, .str.1@rel32@hi+12
	s_cmp_lg_u64 s[6:7], 0
	s_cbranch_scc0 .LBB1_227
; %bb.143:
	s_sub_i32 s12, s12, s6
	s_ashr_i32 s13, s12, 31
	v_and_b32_e32 v32, 2, v0
	v_mov_b32_e32 v3, 0
	v_and_b32_e32 v6, -3, v0
	v_mov_b32_e32 v7, v1
	v_mov_b32_e32 v12, 2
	v_mov_b32_e32 v13, 1
	s_branch .LBB1_145
.LBB1_144:                              ;   in Loop: Header=BB1_145 Depth=1
	s_or_b64 exec, exec, s[18:19]
	s_sub_u32 s12, s12, s14
	s_subb_u32 s13, s13, s15
	s_add_u32 s6, s6, s14
	s_addc_u32 s7, s7, s15
	s_cmp_lg_u64 s[12:13], 0
	s_cbranch_scc0 .LBB1_228
.LBB1_145:                              ; =>This Loop Header: Depth=1
                                        ;     Child Loop BB1_148 Depth 2
                                        ;     Child Loop BB1_156 Depth 2
	;; [unrolled: 1-line block ×11, first 2 shown]
	v_cmp_lt_u64_e64 s[4:5], s[12:13], 56
	v_cmp_gt_u64_e64 s[16:17], s[12:13], 7
	s_and_b64 s[4:5], s[4:5], exec
	s_cselect_b32 s15, s13, 0
	s_cselect_b32 s14, s12, 56
	s_add_u32 s4, s6, 8
	s_addc_u32 s5, s7, 0
	s_and_b64 vcc, exec, s[16:17]
	s_cbranch_vccnz .LBB1_149
; %bb.146:                              ;   in Loop: Header=BB1_145 Depth=1
	s_cmp_eq_u64 s[12:13], 0
	s_cbranch_scc1 .LBB1_150
; %bb.147:                              ;   in Loop: Header=BB1_145 Depth=1
	v_mov_b32_e32 v8, 0
	s_lshl_b64 s[4:5], s[14:15], 3
	s_mov_b64 s[16:17], 0
	v_mov_b32_e32 v9, 0
	s_mov_b64 s[18:19], s[6:7]
.LBB1_148:                              ;   Parent Loop BB1_145 Depth=1
                                        ; =>  This Inner Loop Header: Depth=2
	global_load_ubyte v2, v3, s[18:19]
	s_waitcnt vmcnt(0)
	v_and_b32_e32 v2, 0xffff, v2
	v_lshlrev_b64 v[10:11], s16, v[2:3]
	s_add_u32 s16, s16, 8
	s_addc_u32 s17, s17, 0
	s_add_u32 s18, s18, 1
	s_addc_u32 s19, s19, 0
	v_or_b32_e32 v8, v10, v8
	s_cmp_lg_u32 s4, s16
	v_or_b32_e32 v9, v11, v9
	s_cbranch_scc1 .LBB1_148
	s_branch .LBB1_151
.LBB1_149:                              ;   in Loop: Header=BB1_145 Depth=1
	s_mov_b32 s20, 0
	s_branch .LBB1_152
.LBB1_150:                              ;   in Loop: Header=BB1_145 Depth=1
	v_mov_b32_e32 v8, 0
	v_mov_b32_e32 v9, 0
.LBB1_151:                              ;   in Loop: Header=BB1_145 Depth=1
	s_mov_b64 s[4:5], s[6:7]
	s_mov_b32 s20, 0
	s_cbranch_execnz .LBB1_153
.LBB1_152:                              ;   in Loop: Header=BB1_145 Depth=1
	global_load_dwordx2 v[8:9], v3, s[6:7]
	s_add_i32 s20, s14, -8
.LBB1_153:                              ;   in Loop: Header=BB1_145 Depth=1
	s_add_u32 s16, s4, 8
	s_addc_u32 s17, s5, 0
	s_cmp_gt_u32 s20, 7
	s_cbranch_scc1 .LBB1_157
; %bb.154:                              ;   in Loop: Header=BB1_145 Depth=1
	s_cmp_eq_u32 s20, 0
	s_cbranch_scc1 .LBB1_158
; %bb.155:                              ;   in Loop: Header=BB1_145 Depth=1
	v_mov_b32_e32 v14, 0
	s_mov_b64 s[16:17], 0
	v_mov_b32_e32 v15, 0
	s_mov_b64 s[18:19], 0
.LBB1_156:                              ;   Parent Loop BB1_145 Depth=1
                                        ; =>  This Inner Loop Header: Depth=2
	s_add_u32 s22, s4, s18
	s_addc_u32 s23, s5, s19
	global_load_ubyte v2, v3, s[22:23]
	s_add_u32 s18, s18, 1
	s_addc_u32 s19, s19, 0
	s_waitcnt vmcnt(0)
	v_and_b32_e32 v2, 0xffff, v2
	v_lshlrev_b64 v[10:11], s16, v[2:3]
	s_add_u32 s16, s16, 8
	s_addc_u32 s17, s17, 0
	v_or_b32_e32 v14, v10, v14
	s_cmp_lg_u32 s20, s18
	v_or_b32_e32 v15, v11, v15
	s_cbranch_scc1 .LBB1_156
	s_branch .LBB1_159
.LBB1_157:                              ;   in Loop: Header=BB1_145 Depth=1
                                        ; implicit-def: $vgpr14_vgpr15
	s_mov_b32 s21, 0
	s_branch .LBB1_160
.LBB1_158:                              ;   in Loop: Header=BB1_145 Depth=1
	v_mov_b32_e32 v14, 0
	v_mov_b32_e32 v15, 0
.LBB1_159:                              ;   in Loop: Header=BB1_145 Depth=1
	s_mov_b64 s[16:17], s[4:5]
	s_mov_b32 s21, 0
	s_cbranch_execnz .LBB1_161
.LBB1_160:                              ;   in Loop: Header=BB1_145 Depth=1
	global_load_dwordx2 v[14:15], v3, s[4:5]
	s_add_i32 s21, s20, -8
.LBB1_161:                              ;   in Loop: Header=BB1_145 Depth=1
	s_add_u32 s4, s16, 8
	s_addc_u32 s5, s17, 0
	s_cmp_gt_u32 s21, 7
	s_cbranch_scc1 .LBB1_165
; %bb.162:                              ;   in Loop: Header=BB1_145 Depth=1
	s_cmp_eq_u32 s21, 0
	s_cbranch_scc1 .LBB1_166
; %bb.163:                              ;   in Loop: Header=BB1_145 Depth=1
	v_mov_b32_e32 v16, 0
	s_mov_b64 s[4:5], 0
	v_mov_b32_e32 v17, 0
	s_mov_b64 s[18:19], 0
.LBB1_164:                              ;   Parent Loop BB1_145 Depth=1
                                        ; =>  This Inner Loop Header: Depth=2
	s_add_u32 s22, s16, s18
	s_addc_u32 s23, s17, s19
	global_load_ubyte v2, v3, s[22:23]
	s_add_u32 s18, s18, 1
	s_addc_u32 s19, s19, 0
	s_waitcnt vmcnt(0)
	v_and_b32_e32 v2, 0xffff, v2
	v_lshlrev_b64 v[10:11], s4, v[2:3]
	s_add_u32 s4, s4, 8
	s_addc_u32 s5, s5, 0
	v_or_b32_e32 v16, v10, v16
	s_cmp_lg_u32 s21, s18
	v_or_b32_e32 v17, v11, v17
	s_cbranch_scc1 .LBB1_164
	s_branch .LBB1_167
.LBB1_165:                              ;   in Loop: Header=BB1_145 Depth=1
	s_mov_b32 s20, 0
	s_branch .LBB1_168
.LBB1_166:                              ;   in Loop: Header=BB1_145 Depth=1
	v_mov_b32_e32 v16, 0
	v_mov_b32_e32 v17, 0
.LBB1_167:                              ;   in Loop: Header=BB1_145 Depth=1
	s_mov_b64 s[4:5], s[16:17]
	s_mov_b32 s20, 0
	s_cbranch_execnz .LBB1_169
.LBB1_168:                              ;   in Loop: Header=BB1_145 Depth=1
	global_load_dwordx2 v[16:17], v3, s[16:17]
	s_add_i32 s20, s21, -8
.LBB1_169:                              ;   in Loop: Header=BB1_145 Depth=1
	s_add_u32 s16, s4, 8
	s_addc_u32 s17, s5, 0
	s_cmp_gt_u32 s20, 7
	s_cbranch_scc1 .LBB1_173
; %bb.170:                              ;   in Loop: Header=BB1_145 Depth=1
	s_cmp_eq_u32 s20, 0
	s_cbranch_scc1 .LBB1_174
; %bb.171:                              ;   in Loop: Header=BB1_145 Depth=1
	v_mov_b32_e32 v18, 0
	s_mov_b64 s[16:17], 0
	v_mov_b32_e32 v19, 0
	s_mov_b64 s[18:19], 0
.LBB1_172:                              ;   Parent Loop BB1_145 Depth=1
                                        ; =>  This Inner Loop Header: Depth=2
	s_add_u32 s22, s4, s18
	s_addc_u32 s23, s5, s19
	global_load_ubyte v2, v3, s[22:23]
	s_add_u32 s18, s18, 1
	s_addc_u32 s19, s19, 0
	s_waitcnt vmcnt(0)
	v_and_b32_e32 v2, 0xffff, v2
	v_lshlrev_b64 v[10:11], s16, v[2:3]
	s_add_u32 s16, s16, 8
	s_addc_u32 s17, s17, 0
	v_or_b32_e32 v18, v10, v18
	s_cmp_lg_u32 s20, s18
	v_or_b32_e32 v19, v11, v19
	s_cbranch_scc1 .LBB1_172
	s_branch .LBB1_175
.LBB1_173:                              ;   in Loop: Header=BB1_145 Depth=1
                                        ; implicit-def: $vgpr18_vgpr19
	s_mov_b32 s21, 0
	s_branch .LBB1_176
.LBB1_174:                              ;   in Loop: Header=BB1_145 Depth=1
	v_mov_b32_e32 v18, 0
	v_mov_b32_e32 v19, 0
.LBB1_175:                              ;   in Loop: Header=BB1_145 Depth=1
	s_mov_b64 s[16:17], s[4:5]
	s_mov_b32 s21, 0
	s_cbranch_execnz .LBB1_177
.LBB1_176:                              ;   in Loop: Header=BB1_145 Depth=1
	global_load_dwordx2 v[18:19], v3, s[4:5]
	s_add_i32 s21, s20, -8
.LBB1_177:                              ;   in Loop: Header=BB1_145 Depth=1
	s_add_u32 s4, s16, 8
	s_addc_u32 s5, s17, 0
	s_cmp_gt_u32 s21, 7
	s_cbranch_scc1 .LBB1_181
; %bb.178:                              ;   in Loop: Header=BB1_145 Depth=1
	s_cmp_eq_u32 s21, 0
	s_cbranch_scc1 .LBB1_182
; %bb.179:                              ;   in Loop: Header=BB1_145 Depth=1
	v_mov_b32_e32 v20, 0
	s_mov_b64 s[4:5], 0
	v_mov_b32_e32 v21, 0
	s_mov_b64 s[18:19], 0
.LBB1_180:                              ;   Parent Loop BB1_145 Depth=1
                                        ; =>  This Inner Loop Header: Depth=2
	s_add_u32 s22, s16, s18
	s_addc_u32 s23, s17, s19
	global_load_ubyte v2, v3, s[22:23]
	s_add_u32 s18, s18, 1
	s_addc_u32 s19, s19, 0
	s_waitcnt vmcnt(0)
	v_and_b32_e32 v2, 0xffff, v2
	v_lshlrev_b64 v[10:11], s4, v[2:3]
	s_add_u32 s4, s4, 8
	s_addc_u32 s5, s5, 0
	v_or_b32_e32 v20, v10, v20
	s_cmp_lg_u32 s21, s18
	v_or_b32_e32 v21, v11, v21
	s_cbranch_scc1 .LBB1_180
	s_branch .LBB1_183
.LBB1_181:                              ;   in Loop: Header=BB1_145 Depth=1
	s_mov_b32 s20, 0
	s_branch .LBB1_184
.LBB1_182:                              ;   in Loop: Header=BB1_145 Depth=1
	v_mov_b32_e32 v20, 0
	v_mov_b32_e32 v21, 0
.LBB1_183:                              ;   in Loop: Header=BB1_145 Depth=1
	s_mov_b64 s[4:5], s[16:17]
	s_mov_b32 s20, 0
	s_cbranch_execnz .LBB1_185
.LBB1_184:                              ;   in Loop: Header=BB1_145 Depth=1
	global_load_dwordx2 v[20:21], v3, s[16:17]
	s_add_i32 s20, s21, -8
.LBB1_185:                              ;   in Loop: Header=BB1_145 Depth=1
	s_add_u32 s16, s4, 8
	s_addc_u32 s17, s5, 0
	s_cmp_gt_u32 s20, 7
	s_cbranch_scc1 .LBB1_189
; %bb.186:                              ;   in Loop: Header=BB1_145 Depth=1
	s_cmp_eq_u32 s20, 0
	s_cbranch_scc1 .LBB1_190
; %bb.187:                              ;   in Loop: Header=BB1_145 Depth=1
	v_mov_b32_e32 v22, 0
	s_mov_b64 s[16:17], 0
	v_mov_b32_e32 v23, 0
	s_mov_b64 s[18:19], 0
.LBB1_188:                              ;   Parent Loop BB1_145 Depth=1
                                        ; =>  This Inner Loop Header: Depth=2
	s_add_u32 s22, s4, s18
	s_addc_u32 s23, s5, s19
	global_load_ubyte v2, v3, s[22:23]
	s_add_u32 s18, s18, 1
	s_addc_u32 s19, s19, 0
	s_waitcnt vmcnt(0)
	v_and_b32_e32 v2, 0xffff, v2
	v_lshlrev_b64 v[10:11], s16, v[2:3]
	s_add_u32 s16, s16, 8
	s_addc_u32 s17, s17, 0
	v_or_b32_e32 v22, v10, v22
	s_cmp_lg_u32 s20, s18
	v_or_b32_e32 v23, v11, v23
	s_cbranch_scc1 .LBB1_188
	s_branch .LBB1_191
.LBB1_189:                              ;   in Loop: Header=BB1_145 Depth=1
                                        ; implicit-def: $vgpr22_vgpr23
	s_mov_b32 s21, 0
	s_branch .LBB1_192
.LBB1_190:                              ;   in Loop: Header=BB1_145 Depth=1
	v_mov_b32_e32 v22, 0
	v_mov_b32_e32 v23, 0
.LBB1_191:                              ;   in Loop: Header=BB1_145 Depth=1
	s_mov_b64 s[16:17], s[4:5]
	s_mov_b32 s21, 0
	s_cbranch_execnz .LBB1_193
.LBB1_192:                              ;   in Loop: Header=BB1_145 Depth=1
	global_load_dwordx2 v[22:23], v3, s[4:5]
	s_add_i32 s21, s20, -8
.LBB1_193:                              ;   in Loop: Header=BB1_145 Depth=1
	s_cmp_gt_u32 s21, 7
	s_cbranch_scc1 .LBB1_197
; %bb.194:                              ;   in Loop: Header=BB1_145 Depth=1
	s_cmp_eq_u32 s21, 0
	s_cbranch_scc1 .LBB1_198
; %bb.195:                              ;   in Loop: Header=BB1_145 Depth=1
	v_mov_b32_e32 v24, 0
	s_mov_b64 s[4:5], 0
	v_mov_b32_e32 v25, 0
	s_mov_b64 s[18:19], s[16:17]
.LBB1_196:                              ;   Parent Loop BB1_145 Depth=1
                                        ; =>  This Inner Loop Header: Depth=2
	global_load_ubyte v2, v3, s[18:19]
	s_add_i32 s21, s21, -1
	s_waitcnt vmcnt(0)
	v_and_b32_e32 v2, 0xffff, v2
	v_lshlrev_b64 v[10:11], s4, v[2:3]
	s_add_u32 s4, s4, 8
	s_addc_u32 s5, s5, 0
	s_add_u32 s18, s18, 1
	s_addc_u32 s19, s19, 0
	v_or_b32_e32 v24, v10, v24
	s_cmp_lg_u32 s21, 0
	v_or_b32_e32 v25, v11, v25
	s_cbranch_scc1 .LBB1_196
	s_branch .LBB1_199
.LBB1_197:                              ;   in Loop: Header=BB1_145 Depth=1
	s_branch .LBB1_200
.LBB1_198:                              ;   in Loop: Header=BB1_145 Depth=1
	v_mov_b32_e32 v24, 0
	v_mov_b32_e32 v25, 0
.LBB1_199:                              ;   in Loop: Header=BB1_145 Depth=1
	s_cbranch_execnz .LBB1_201
.LBB1_200:                              ;   in Loop: Header=BB1_145 Depth=1
	global_load_dwordx2 v[24:25], v3, s[16:17]
.LBB1_201:                              ;   in Loop: Header=BB1_145 Depth=1
	v_readfirstlane_b32 s4, v34
	v_mov_b32_e32 v10, 0
	v_mov_b32_e32 v11, 0
	v_cmp_eq_u32_e64 s[4:5], s4, v34
	s_and_saveexec_b64 s[16:17], s[4:5]
	s_cbranch_execz .LBB1_207
; %bb.202:                              ;   in Loop: Header=BB1_145 Depth=1
	global_load_dwordx2 v[28:29], v3, s[10:11] offset:24 glc
	s_waitcnt vmcnt(0)
	buffer_wbinvl1_vol
	global_load_dwordx2 v[10:11], v3, s[10:11] offset:40
	global_load_dwordx2 v[26:27], v3, s[10:11]
	s_waitcnt vmcnt(1)
	v_and_b32_e32 v2, v10, v28
	v_and_b32_e32 v10, v11, v29
	v_mul_lo_u32 v10, v10, 24
	v_mul_hi_u32 v11, v2, 24
	v_mul_lo_u32 v2, v2, 24
	v_add_u32_e32 v11, v11, v10
	s_waitcnt vmcnt(0)
	v_add_co_u32_e32 v10, vcc, v26, v2
	v_addc_co_u32_e32 v11, vcc, v27, v11, vcc
	global_load_dwordx2 v[26:27], v[10:11], off glc
	s_waitcnt vmcnt(0)
	global_atomic_cmpswap_x2 v[10:11], v3, v[26:29], s[10:11] offset:24 glc
	s_waitcnt vmcnt(0)
	buffer_wbinvl1_vol
	v_cmp_ne_u64_e32 vcc, v[10:11], v[28:29]
	s_and_saveexec_b64 s[18:19], vcc
	s_cbranch_execz .LBB1_206
; %bb.203:                              ;   in Loop: Header=BB1_145 Depth=1
	s_mov_b64 s[20:21], 0
.LBB1_204:                              ;   Parent Loop BB1_145 Depth=1
                                        ; =>  This Inner Loop Header: Depth=2
	s_sleep 1
	global_load_dwordx2 v[26:27], v3, s[10:11] offset:40
	global_load_dwordx2 v[30:31], v3, s[10:11]
	v_mov_b32_e32 v29, v11
	v_mov_b32_e32 v28, v10
	s_waitcnt vmcnt(1)
	v_and_b32_e32 v2, v26, v28
	s_waitcnt vmcnt(0)
	v_mad_u64_u32 v[10:11], s[22:23], v2, 24, v[30:31]
	v_and_b32_e32 v26, v27, v29
	v_mov_b32_e32 v2, v11
	v_mad_u64_u32 v[26:27], s[22:23], v26, 24, v[2:3]
	v_mov_b32_e32 v11, v26
	global_load_dwordx2 v[26:27], v[10:11], off glc
	s_waitcnt vmcnt(0)
	global_atomic_cmpswap_x2 v[10:11], v3, v[26:29], s[10:11] offset:24 glc
	s_waitcnt vmcnt(0)
	buffer_wbinvl1_vol
	v_cmp_eq_u64_e32 vcc, v[10:11], v[28:29]
	s_or_b64 s[20:21], vcc, s[20:21]
	s_andn2_b64 exec, exec, s[20:21]
	s_cbranch_execnz .LBB1_204
; %bb.205:                              ;   in Loop: Header=BB1_145 Depth=1
	s_or_b64 exec, exec, s[20:21]
.LBB1_206:                              ;   in Loop: Header=BB1_145 Depth=1
	s_or_b64 exec, exec, s[18:19]
.LBB1_207:                              ;   in Loop: Header=BB1_145 Depth=1
	s_or_b64 exec, exec, s[16:17]
	global_load_dwordx2 v[30:31], v3, s[10:11] offset:40
	global_load_dwordx4 v[26:29], v3, s[10:11]
	v_readfirstlane_b32 s17, v11
	v_readfirstlane_b32 s16, v10
	s_mov_b64 s[18:19], exec
	s_waitcnt vmcnt(1)
	v_readfirstlane_b32 s20, v30
	v_readfirstlane_b32 s21, v31
	s_and_b64 s[20:21], s[20:21], s[16:17]
	s_mul_i32 s22, s21, 24
	s_mul_hi_u32 s23, s20, 24
	s_mul_i32 s24, s20, 24
	s_add_i32 s22, s23, s22
	v_mov_b32_e32 v2, s22
	s_waitcnt vmcnt(0)
	v_add_co_u32_e32 v30, vcc, s24, v26
	v_addc_co_u32_e32 v31, vcc, v27, v2, vcc
	s_and_saveexec_b64 s[22:23], s[4:5]
	s_cbranch_execz .LBB1_209
; %bb.208:                              ;   in Loop: Header=BB1_145 Depth=1
	v_mov_b32_e32 v10, s18
	v_mov_b32_e32 v11, s19
	global_store_dwordx4 v[30:31], v[10:13], off offset:8
.LBB1_209:                              ;   in Loop: Header=BB1_145 Depth=1
	s_or_b64 exec, exec, s[22:23]
	s_lshl_b64 s[18:19], s[20:21], 12
	v_mov_b32_e32 v2, s19
	v_add_co_u32_e32 v28, vcc, s18, v28
	v_addc_co_u32_e32 v29, vcc, v29, v2, vcc
	v_cmp_lt_u64_e64 vcc, s[12:13], 57
	s_lshl_b32 s18, s14, 2
	v_cndmask_b32_e32 v2, 0, v32, vcc
	s_add_i32 s18, s18, 28
	v_and_b32_e32 v6, 0xffffff1f, v6
	s_and_b32 s18, s18, 0x1e0
	v_or_b32_e32 v2, v6, v2
	v_or_b32_e32 v6, s18, v2
	v_readfirstlane_b32 s18, v28
	v_readfirstlane_b32 s19, v29
	s_nop 4
	global_store_dwordx4 v35, v[6:9], s[18:19]
	global_store_dwordx4 v35, v[14:17], s[18:19] offset:16
	global_store_dwordx4 v35, v[18:21], s[18:19] offset:32
	;; [unrolled: 1-line block ×3, first 2 shown]
	s_and_saveexec_b64 s[18:19], s[4:5]
	s_cbranch_execz .LBB1_217
; %bb.210:                              ;   in Loop: Header=BB1_145 Depth=1
	global_load_dwordx2 v[16:17], v3, s[10:11] offset:32 glc
	global_load_dwordx2 v[6:7], v3, s[10:11] offset:40
	v_mov_b32_e32 v14, s16
	v_mov_b32_e32 v15, s17
	s_waitcnt vmcnt(0)
	v_readfirstlane_b32 s20, v6
	v_readfirstlane_b32 s21, v7
	s_and_b64 s[20:21], s[20:21], s[16:17]
	s_mul_i32 s21, s21, 24
	s_mul_hi_u32 s22, s20, 24
	s_mul_i32 s20, s20, 24
	s_add_i32 s21, s22, s21
	v_mov_b32_e32 v2, s21
	v_add_co_u32_e32 v10, vcc, s20, v26
	v_addc_co_u32_e32 v11, vcc, v27, v2, vcc
	global_store_dwordx2 v[10:11], v[16:17], off
	s_waitcnt vmcnt(0)
	global_atomic_cmpswap_x2 v[8:9], v3, v[14:17], s[10:11] offset:32 glc
	s_waitcnt vmcnt(0)
	v_cmp_ne_u64_e32 vcc, v[8:9], v[16:17]
	s_and_saveexec_b64 s[20:21], vcc
	s_cbranch_execz .LBB1_213
; %bb.211:                              ;   in Loop: Header=BB1_145 Depth=1
	s_mov_b64 s[22:23], 0
.LBB1_212:                              ;   Parent Loop BB1_145 Depth=1
                                        ; =>  This Inner Loop Header: Depth=2
	s_sleep 1
	global_store_dwordx2 v[10:11], v[8:9], off
	v_mov_b32_e32 v6, s16
	v_mov_b32_e32 v7, s17
	s_waitcnt vmcnt(0)
	global_atomic_cmpswap_x2 v[6:7], v3, v[6:9], s[10:11] offset:32 glc
	s_waitcnt vmcnt(0)
	v_cmp_eq_u64_e32 vcc, v[6:7], v[8:9]
	v_mov_b32_e32 v9, v7
	s_or_b64 s[22:23], vcc, s[22:23]
	v_mov_b32_e32 v8, v6
	s_andn2_b64 exec, exec, s[22:23]
	s_cbranch_execnz .LBB1_212
.LBB1_213:                              ;   in Loop: Header=BB1_145 Depth=1
	s_or_b64 exec, exec, s[20:21]
	global_load_dwordx2 v[6:7], v3, s[10:11] offset:16
	s_mov_b64 s[22:23], exec
	v_mbcnt_lo_u32_b32 v2, s22, 0
	v_mbcnt_hi_u32_b32 v2, s23, v2
	v_cmp_eq_u32_e32 vcc, 0, v2
	s_and_saveexec_b64 s[20:21], vcc
	s_cbranch_execz .LBB1_215
; %bb.214:                              ;   in Loop: Header=BB1_145 Depth=1
	s_bcnt1_i32_b64 s22, s[22:23]
	v_mov_b32_e32 v2, s22
	s_waitcnt vmcnt(0)
	global_atomic_add_x2 v[6:7], v[2:3], off offset:8
.LBB1_215:                              ;   in Loop: Header=BB1_145 Depth=1
	s_or_b64 exec, exec, s[20:21]
	s_waitcnt vmcnt(0)
	global_load_dwordx2 v[8:9], v[6:7], off offset:16
	s_waitcnt vmcnt(0)
	v_cmp_eq_u64_e32 vcc, 0, v[8:9]
	s_cbranch_vccnz .LBB1_217
; %bb.216:                              ;   in Loop: Header=BB1_145 Depth=1
	global_load_dword v2, v[6:7], off offset:24
	s_waitcnt vmcnt(0)
	v_readfirstlane_b32 s20, v2
	s_and_b32 m0, s20, 0xffffff
	global_store_dwordx2 v[8:9], v[2:3], off
	s_sendmsg sendmsg(MSG_INTERRUPT)
.LBB1_217:                              ;   in Loop: Header=BB1_145 Depth=1
	s_or_b64 exec, exec, s[18:19]
	v_add_co_u32_e32 v6, vcc, v28, v35
	v_addc_co_u32_e32 v7, vcc, 0, v29, vcc
	s_branch .LBB1_221
.LBB1_218:                              ;   in Loop: Header=BB1_221 Depth=2
	s_or_b64 exec, exec, s[18:19]
	v_readfirstlane_b32 s18, v2
	s_cmp_eq_u32 s18, 0
	s_cbranch_scc1 .LBB1_220
; %bb.219:                              ;   in Loop: Header=BB1_221 Depth=2
	s_sleep 1
	s_cbranch_execnz .LBB1_221
	s_branch .LBB1_223
.LBB1_220:                              ;   in Loop: Header=BB1_145 Depth=1
	s_branch .LBB1_223
.LBB1_221:                              ;   Parent Loop BB1_145 Depth=1
                                        ; =>  This Inner Loop Header: Depth=2
	v_mov_b32_e32 v2, 1
	s_and_saveexec_b64 s[18:19], s[4:5]
	s_cbranch_execz .LBB1_218
; %bb.222:                              ;   in Loop: Header=BB1_221 Depth=2
	global_load_dword v2, v[30:31], off offset:20 glc
	s_waitcnt vmcnt(0)
	buffer_wbinvl1_vol
	v_and_b32_e32 v2, 1, v2
	s_branch .LBB1_218
.LBB1_223:                              ;   in Loop: Header=BB1_145 Depth=1
	global_load_dwordx2 v[6:7], v[6:7], off
	s_and_saveexec_b64 s[18:19], s[4:5]
	s_cbranch_execz .LBB1_144
; %bb.224:                              ;   in Loop: Header=BB1_145 Depth=1
	global_load_dwordx2 v[8:9], v3, s[10:11] offset:40
	global_load_dwordx2 v[18:19], v3, s[10:11] offset:24 glc
	global_load_dwordx2 v[10:11], v3, s[10:11]
	s_waitcnt vmcnt(2)
	v_readfirstlane_b32 s20, v8
	v_readfirstlane_b32 s21, v9
	s_add_u32 s22, s20, 1
	s_addc_u32 s23, s21, 0
	s_add_u32 s4, s22, s16
	s_addc_u32 s5, s23, s17
	s_cmp_eq_u64 s[4:5], 0
	s_cselect_b32 s5, s23, s5
	s_cselect_b32 s4, s22, s4
	s_and_b64 s[16:17], s[4:5], s[20:21]
	s_mul_i32 s17, s17, 24
	s_mul_hi_u32 s20, s16, 24
	s_mul_i32 s16, s16, 24
	s_add_i32 s17, s20, s17
	v_mov_b32_e32 v2, s17
	s_waitcnt vmcnt(0)
	v_add_co_u32_e32 v14, vcc, s16, v10
	v_addc_co_u32_e32 v15, vcc, v11, v2, vcc
	v_mov_b32_e32 v16, s4
	global_store_dwordx2 v[14:15], v[18:19], off
	v_mov_b32_e32 v17, s5
	s_waitcnt vmcnt(0)
	global_atomic_cmpswap_x2 v[10:11], v3, v[16:19], s[10:11] offset:24 glc
	s_waitcnt vmcnt(0)
	v_cmp_ne_u64_e32 vcc, v[10:11], v[18:19]
	s_and_b64 exec, exec, vcc
	s_cbranch_execz .LBB1_144
; %bb.225:                              ;   in Loop: Header=BB1_145 Depth=1
	s_mov_b64 s[16:17], 0
.LBB1_226:                              ;   Parent Loop BB1_145 Depth=1
                                        ; =>  This Inner Loop Header: Depth=2
	s_sleep 1
	global_store_dwordx2 v[14:15], v[10:11], off
	v_mov_b32_e32 v8, s4
	v_mov_b32_e32 v9, s5
	s_waitcnt vmcnt(0)
	global_atomic_cmpswap_x2 v[8:9], v3, v[8:11], s[10:11] offset:24 glc
	s_waitcnt vmcnt(0)
	v_cmp_eq_u64_e32 vcc, v[8:9], v[10:11]
	v_mov_b32_e32 v11, v9
	s_or_b64 s[16:17], vcc, s[16:17]
	v_mov_b32_e32 v10, v8
	s_andn2_b64 exec, exec, s[16:17]
	s_cbranch_execnz .LBB1_226
	s_branch .LBB1_144
.LBB1_227:
                                        ; implicit-def: $vgpr6_vgpr7
	s_cbranch_execnz .LBB1_229
	s_branch .LBB1_255
.LBB1_228:
	s_branch .LBB1_255
.LBB1_229:
	v_readfirstlane_b32 s4, v34
	v_mov_b32_e32 v10, 0
	v_mov_b32_e32 v11, 0
	v_cmp_eq_u32_e64 s[4:5], s4, v34
	s_and_saveexec_b64 s[6:7], s[4:5]
	s_cbranch_execz .LBB1_235
; %bb.230:
	v_mov_b32_e32 v2, 0
	global_load_dwordx2 v[8:9], v2, s[10:11] offset:24 glc
	s_waitcnt vmcnt(0)
	buffer_wbinvl1_vol
	global_load_dwordx2 v[6:7], v2, s[10:11] offset:40
	global_load_dwordx2 v[10:11], v2, s[10:11]
	s_waitcnt vmcnt(1)
	v_and_b32_e32 v3, v6, v8
	v_and_b32_e32 v6, v7, v9
	v_mul_lo_u32 v6, v6, 24
	v_mul_hi_u32 v7, v3, 24
	v_mul_lo_u32 v3, v3, 24
	v_add_u32_e32 v7, v7, v6
	s_waitcnt vmcnt(0)
	v_add_co_u32_e32 v6, vcc, v10, v3
	v_addc_co_u32_e32 v7, vcc, v11, v7, vcc
	global_load_dwordx2 v[6:7], v[6:7], off glc
	s_waitcnt vmcnt(0)
	global_atomic_cmpswap_x2 v[10:11], v2, v[6:9], s[10:11] offset:24 glc
	s_waitcnt vmcnt(0)
	buffer_wbinvl1_vol
	v_cmp_ne_u64_e32 vcc, v[10:11], v[8:9]
	s_and_saveexec_b64 s[12:13], vcc
	s_cbranch_execz .LBB1_234
; %bb.231:
	s_mov_b64 s[14:15], 0
.LBB1_232:                              ; =>This Inner Loop Header: Depth=1
	s_sleep 1
	global_load_dwordx2 v[6:7], v2, s[10:11] offset:40
	global_load_dwordx2 v[12:13], v2, s[10:11]
	v_mov_b32_e32 v8, v10
	v_mov_b32_e32 v9, v11
	s_waitcnt vmcnt(1)
	v_and_b32_e32 v3, v6, v8
	s_waitcnt vmcnt(0)
	v_mad_u64_u32 v[10:11], s[16:17], v3, 24, v[12:13]
	v_and_b32_e32 v6, v7, v9
	v_mov_b32_e32 v3, v11
	v_mad_u64_u32 v[6:7], s[16:17], v6, 24, v[3:4]
	v_mov_b32_e32 v11, v6
	global_load_dwordx2 v[6:7], v[10:11], off glc
	s_waitcnt vmcnt(0)
	global_atomic_cmpswap_x2 v[10:11], v2, v[6:9], s[10:11] offset:24 glc
	s_waitcnt vmcnt(0)
	buffer_wbinvl1_vol
	v_cmp_eq_u64_e32 vcc, v[10:11], v[8:9]
	s_or_b64 s[14:15], vcc, s[14:15]
	s_andn2_b64 exec, exec, s[14:15]
	s_cbranch_execnz .LBB1_232
; %bb.233:
	s_or_b64 exec, exec, s[14:15]
.LBB1_234:
	s_or_b64 exec, exec, s[12:13]
.LBB1_235:
	s_or_b64 exec, exec, s[6:7]
	v_mov_b32_e32 v2, 0
	global_load_dwordx2 v[12:13], v2, s[10:11] offset:40
	global_load_dwordx4 v[6:9], v2, s[10:11]
	v_readfirstlane_b32 s7, v11
	v_readfirstlane_b32 s6, v10
	s_mov_b64 s[12:13], exec
	s_waitcnt vmcnt(1)
	v_readfirstlane_b32 s14, v12
	v_readfirstlane_b32 s15, v13
	s_and_b64 s[14:15], s[14:15], s[6:7]
	s_mul_i32 s16, s15, 24
	s_mul_hi_u32 s17, s14, 24
	s_mul_i32 s18, s14, 24
	s_add_i32 s16, s17, s16
	v_mov_b32_e32 v3, s16
	s_waitcnt vmcnt(0)
	v_add_co_u32_e32 v10, vcc, s18, v6
	v_addc_co_u32_e32 v11, vcc, v7, v3, vcc
	s_and_saveexec_b64 s[16:17], s[4:5]
	s_cbranch_execz .LBB1_237
; %bb.236:
	v_mov_b32_e32 v12, s12
	v_mov_b32_e32 v13, s13
	;; [unrolled: 1-line block ×4, first 2 shown]
	global_store_dwordx4 v[10:11], v[12:15], off offset:8
.LBB1_237:
	s_or_b64 exec, exec, s[16:17]
	s_lshl_b64 s[12:13], s[14:15], 12
	v_mov_b32_e32 v3, s13
	v_add_co_u32_e32 v12, vcc, s12, v8
	v_addc_co_u32_e32 v13, vcc, v9, v3, vcc
	s_movk_i32 s12, 0xff1f
	v_and_or_b32 v0, v0, s12, 32
	s_mov_b32 s12, 0
	v_mov_b32_e32 v3, v2
	v_readfirstlane_b32 s16, v12
	v_readfirstlane_b32 s17, v13
	v_add_co_u32_e32 v8, vcc, v12, v35
	s_mov_b32 s13, s12
	s_mov_b32 s14, s12
	;; [unrolled: 1-line block ×3, first 2 shown]
	s_nop 0
	global_store_dwordx4 v35, v[0:3], s[16:17]
	v_addc_co_u32_e32 v9, vcc, 0, v13, vcc
	v_mov_b32_e32 v0, s12
	v_mov_b32_e32 v1, s13
	;; [unrolled: 1-line block ×4, first 2 shown]
	global_store_dwordx4 v35, v[0:3], s[16:17] offset:16
	global_store_dwordx4 v35, v[0:3], s[16:17] offset:32
	;; [unrolled: 1-line block ×3, first 2 shown]
	s_and_saveexec_b64 s[12:13], s[4:5]
	s_cbranch_execz .LBB1_245
; %bb.238:
	v_mov_b32_e32 v12, 0
	global_load_dwordx2 v[15:16], v12, s[10:11] offset:32 glc
	global_load_dwordx2 v[0:1], v12, s[10:11] offset:40
	v_mov_b32_e32 v13, s6
	v_mov_b32_e32 v14, s7
	s_waitcnt vmcnt(0)
	v_readfirstlane_b32 s14, v0
	v_readfirstlane_b32 s15, v1
	s_and_b64 s[14:15], s[14:15], s[6:7]
	s_mul_i32 s15, s15, 24
	s_mul_hi_u32 s16, s14, 24
	s_mul_i32 s14, s14, 24
	s_add_i32 s15, s16, s15
	v_mov_b32_e32 v0, s15
	v_add_co_u32_e32 v6, vcc, s14, v6
	v_addc_co_u32_e32 v7, vcc, v7, v0, vcc
	global_store_dwordx2 v[6:7], v[15:16], off
	s_waitcnt vmcnt(0)
	global_atomic_cmpswap_x2 v[2:3], v12, v[13:16], s[10:11] offset:32 glc
	s_waitcnt vmcnt(0)
	v_cmp_ne_u64_e32 vcc, v[2:3], v[15:16]
	s_and_saveexec_b64 s[14:15], vcc
	s_cbranch_execz .LBB1_241
; %bb.239:
	s_mov_b64 s[16:17], 0
.LBB1_240:                              ; =>This Inner Loop Header: Depth=1
	s_sleep 1
	global_store_dwordx2 v[6:7], v[2:3], off
	v_mov_b32_e32 v0, s6
	v_mov_b32_e32 v1, s7
	s_waitcnt vmcnt(0)
	global_atomic_cmpswap_x2 v[0:1], v12, v[0:3], s[10:11] offset:32 glc
	s_waitcnt vmcnt(0)
	v_cmp_eq_u64_e32 vcc, v[0:1], v[2:3]
	v_mov_b32_e32 v3, v1
	s_or_b64 s[16:17], vcc, s[16:17]
	v_mov_b32_e32 v2, v0
	s_andn2_b64 exec, exec, s[16:17]
	s_cbranch_execnz .LBB1_240
.LBB1_241:
	s_or_b64 exec, exec, s[14:15]
	v_mov_b32_e32 v3, 0
	global_load_dwordx2 v[0:1], v3, s[10:11] offset:16
	s_mov_b64 s[14:15], exec
	v_mbcnt_lo_u32_b32 v2, s14, 0
	v_mbcnt_hi_u32_b32 v2, s15, v2
	v_cmp_eq_u32_e32 vcc, 0, v2
	s_and_saveexec_b64 s[16:17], vcc
	s_cbranch_execz .LBB1_243
; %bb.242:
	s_bcnt1_i32_b64 s14, s[14:15]
	v_mov_b32_e32 v2, s14
	s_waitcnt vmcnt(0)
	global_atomic_add_x2 v[0:1], v[2:3], off offset:8
.LBB1_243:
	s_or_b64 exec, exec, s[16:17]
	s_waitcnt vmcnt(0)
	global_load_dwordx2 v[2:3], v[0:1], off offset:16
	s_waitcnt vmcnt(0)
	v_cmp_eq_u64_e32 vcc, 0, v[2:3]
	s_cbranch_vccnz .LBB1_245
; %bb.244:
	global_load_dword v0, v[0:1], off offset:24
	v_mov_b32_e32 v1, 0
	s_waitcnt vmcnt(0)
	v_readfirstlane_b32 s14, v0
	s_and_b32 m0, s14, 0xffffff
	global_store_dwordx2 v[2:3], v[0:1], off
	s_sendmsg sendmsg(MSG_INTERRUPT)
.LBB1_245:
	s_or_b64 exec, exec, s[12:13]
	s_branch .LBB1_249
.LBB1_246:                              ;   in Loop: Header=BB1_249 Depth=1
	s_or_b64 exec, exec, s[12:13]
	v_readfirstlane_b32 s12, v0
	s_cmp_eq_u32 s12, 0
	s_cbranch_scc1 .LBB1_248
; %bb.247:                              ;   in Loop: Header=BB1_249 Depth=1
	s_sleep 1
	s_cbranch_execnz .LBB1_249
	s_branch .LBB1_251
.LBB1_248:
	s_branch .LBB1_251
.LBB1_249:                              ; =>This Inner Loop Header: Depth=1
	v_mov_b32_e32 v0, 1
	s_and_saveexec_b64 s[12:13], s[4:5]
	s_cbranch_execz .LBB1_246
; %bb.250:                              ;   in Loop: Header=BB1_249 Depth=1
	global_load_dword v0, v[10:11], off offset:20 glc
	s_waitcnt vmcnt(0)
	buffer_wbinvl1_vol
	v_and_b32_e32 v0, 1, v0
	s_branch .LBB1_246
.LBB1_251:
	global_load_dwordx2 v[6:7], v[8:9], off
	s_and_saveexec_b64 s[12:13], s[4:5]
	s_cbranch_execz .LBB1_254
; %bb.252:
	v_mov_b32_e32 v10, 0
	global_load_dwordx2 v[0:1], v10, s[10:11] offset:40
	global_load_dwordx2 v[13:14], v10, s[10:11] offset:24 glc
	global_load_dwordx2 v[2:3], v10, s[10:11]
	s_waitcnt vmcnt(2)
	v_readfirstlane_b32 s14, v0
	v_readfirstlane_b32 s15, v1
	s_add_u32 s16, s14, 1
	s_addc_u32 s17, s15, 0
	s_add_u32 s4, s16, s6
	s_addc_u32 s5, s17, s7
	s_cmp_eq_u64 s[4:5], 0
	s_cselect_b32 s5, s17, s5
	s_cselect_b32 s4, s16, s4
	s_and_b64 s[6:7], s[4:5], s[14:15]
	s_mul_i32 s7, s7, 24
	s_mul_hi_u32 s14, s6, 24
	s_mul_i32 s6, s6, 24
	s_add_i32 s7, s14, s7
	v_mov_b32_e32 v0, s7
	s_waitcnt vmcnt(0)
	v_add_co_u32_e32 v8, vcc, s6, v2
	v_addc_co_u32_e32 v9, vcc, v3, v0, vcc
	v_mov_b32_e32 v11, s4
	global_store_dwordx2 v[8:9], v[13:14], off
	v_mov_b32_e32 v12, s5
	s_waitcnt vmcnt(0)
	global_atomic_cmpswap_x2 v[2:3], v10, v[11:14], s[10:11] offset:24 glc
	s_mov_b64 s[6:7], 0
	s_waitcnt vmcnt(0)
	v_cmp_ne_u64_e32 vcc, v[2:3], v[13:14]
	s_and_b64 exec, exec, vcc
	s_cbranch_execz .LBB1_254
.LBB1_253:                              ; =>This Inner Loop Header: Depth=1
	s_sleep 1
	global_store_dwordx2 v[8:9], v[2:3], off
	v_mov_b32_e32 v0, s4
	v_mov_b32_e32 v1, s5
	s_waitcnt vmcnt(0)
	global_atomic_cmpswap_x2 v[0:1], v10, v[0:3], s[10:11] offset:24 glc
	s_waitcnt vmcnt(0)
	v_cmp_eq_u64_e32 vcc, v[0:1], v[2:3]
	v_mov_b32_e32 v3, v1
	s_or_b64 s[6:7], vcc, s[6:7]
	v_mov_b32_e32 v2, v0
	s_andn2_b64 exec, exec, s[6:7]
	s_cbranch_execnz .LBB1_253
.LBB1_254:
	s_or_b64 exec, exec, s[12:13]
.LBB1_255:
	v_readfirstlane_b32 s4, v34
	v_mov_b32_e32 v10, 0
	v_mov_b32_e32 v11, 0
	v_cmp_eq_u32_e64 s[4:5], s4, v34
	s_and_saveexec_b64 s[6:7], s[4:5]
	s_cbranch_execz .LBB1_261
; %bb.256:
	v_mov_b32_e32 v0, 0
	global_load_dwordx2 v[12:13], v0, s[10:11] offset:24 glc
	s_waitcnt vmcnt(0)
	buffer_wbinvl1_vol
	global_load_dwordx2 v[1:2], v0, s[10:11] offset:40
	global_load_dwordx2 v[8:9], v0, s[10:11]
	s_waitcnt vmcnt(1)
	v_and_b32_e32 v1, v1, v12
	v_and_b32_e32 v2, v2, v13
	v_mul_lo_u32 v2, v2, 24
	v_mul_hi_u32 v3, v1, 24
	v_mul_lo_u32 v1, v1, 24
	v_add_u32_e32 v2, v3, v2
	s_waitcnt vmcnt(0)
	v_add_co_u32_e32 v1, vcc, v8, v1
	v_addc_co_u32_e32 v2, vcc, v9, v2, vcc
	global_load_dwordx2 v[10:11], v[1:2], off glc
	s_waitcnt vmcnt(0)
	global_atomic_cmpswap_x2 v[10:11], v0, v[10:13], s[10:11] offset:24 glc
	s_waitcnt vmcnt(0)
	buffer_wbinvl1_vol
	v_cmp_ne_u64_e32 vcc, v[10:11], v[12:13]
	s_and_saveexec_b64 s[12:13], vcc
	s_cbranch_execz .LBB1_260
; %bb.257:
	s_mov_b64 s[14:15], 0
.LBB1_258:                              ; =>This Inner Loop Header: Depth=1
	s_sleep 1
	global_load_dwordx2 v[1:2], v0, s[10:11] offset:40
	global_load_dwordx2 v[8:9], v0, s[10:11]
	v_mov_b32_e32 v13, v11
	v_mov_b32_e32 v12, v10
	s_waitcnt vmcnt(1)
	v_and_b32_e32 v1, v1, v12
	s_waitcnt vmcnt(0)
	v_mad_u64_u32 v[8:9], s[16:17], v1, 24, v[8:9]
	v_and_b32_e32 v2, v2, v13
	v_mov_b32_e32 v1, v9
	v_mad_u64_u32 v[1:2], s[16:17], v2, 24, v[1:2]
	v_mov_b32_e32 v9, v1
	global_load_dwordx2 v[10:11], v[8:9], off glc
	s_waitcnt vmcnt(0)
	global_atomic_cmpswap_x2 v[10:11], v0, v[10:13], s[10:11] offset:24 glc
	s_waitcnt vmcnt(0)
	buffer_wbinvl1_vol
	v_cmp_eq_u64_e32 vcc, v[10:11], v[12:13]
	s_or_b64 s[14:15], vcc, s[14:15]
	s_andn2_b64 exec, exec, s[14:15]
	s_cbranch_execnz .LBB1_258
; %bb.259:
	s_or_b64 exec, exec, s[14:15]
.LBB1_260:
	s_or_b64 exec, exec, s[12:13]
.LBB1_261:
	s_or_b64 exec, exec, s[6:7]
	v_mov_b32_e32 v9, 0
	global_load_dwordx2 v[12:13], v9, s[10:11] offset:40
	global_load_dwordx4 v[0:3], v9, s[10:11]
	v_readfirstlane_b32 s7, v11
	v_readfirstlane_b32 s6, v10
	s_mov_b64 s[12:13], exec
	s_waitcnt vmcnt(1)
	v_readfirstlane_b32 s14, v12
	v_readfirstlane_b32 s15, v13
	s_and_b64 s[14:15], s[14:15], s[6:7]
	s_mul_i32 s16, s15, 24
	s_mul_hi_u32 s17, s14, 24
	s_mul_i32 s18, s14, 24
	s_add_i32 s16, s17, s16
	v_mov_b32_e32 v8, s16
	s_waitcnt vmcnt(0)
	v_add_co_u32_e32 v10, vcc, s18, v0
	v_addc_co_u32_e32 v11, vcc, v1, v8, vcc
	s_and_saveexec_b64 s[16:17], s[4:5]
	s_cbranch_execz .LBB1_263
; %bb.262:
	v_mov_b32_e32 v12, s12
	v_mov_b32_e32 v13, s13
	;; [unrolled: 1-line block ×4, first 2 shown]
	global_store_dwordx4 v[10:11], v[12:15], off offset:8
.LBB1_263:
	s_or_b64 exec, exec, s[16:17]
	s_lshl_b64 s[12:13], s[14:15], 12
	v_mov_b32_e32 v8, s13
	v_add_co_u32_e32 v2, vcc, s12, v2
	v_addc_co_u32_e32 v3, vcc, v3, v8, vcc
	s_movk_i32 s12, 0xff1f
	v_and_or_b32 v6, v6, s12, 32
	s_mov_b32 s12, 0
	v_mov_b32_e32 v8, 0x7d
	v_readfirstlane_b32 s16, v2
	v_readfirstlane_b32 s17, v3
	v_add_co_u32_e32 v12, vcc, v2, v35
	s_mov_b32 s13, s12
	s_mov_b32 s14, s12
	;; [unrolled: 1-line block ×3, first 2 shown]
	s_nop 0
	global_store_dwordx4 v35, v[6:9], s[16:17]
	v_addc_co_u32_e32 v13, vcc, 0, v3, vcc
	v_mov_b32_e32 v6, s12
	v_mov_b32_e32 v7, s13
	;; [unrolled: 1-line block ×4, first 2 shown]
	global_store_dwordx4 v35, v[6:9], s[16:17] offset:16
	global_store_dwordx4 v35, v[6:9], s[16:17] offset:32
	;; [unrolled: 1-line block ×3, first 2 shown]
	s_and_saveexec_b64 s[12:13], s[4:5]
	s_cbranch_execz .LBB1_271
; %bb.264:
	v_mov_b32_e32 v8, 0
	global_load_dwordx2 v[16:17], v8, s[10:11] offset:32 glc
	global_load_dwordx2 v[2:3], v8, s[10:11] offset:40
	v_mov_b32_e32 v14, s6
	v_mov_b32_e32 v15, s7
	s_waitcnt vmcnt(0)
	v_readfirstlane_b32 s14, v2
	v_readfirstlane_b32 s15, v3
	s_and_b64 s[14:15], s[14:15], s[6:7]
	s_mul_i32 s15, s15, 24
	s_mul_hi_u32 s16, s14, 24
	s_mul_i32 s14, s14, 24
	s_add_i32 s15, s16, s15
	v_mov_b32_e32 v2, s15
	v_add_co_u32_e32 v6, vcc, s14, v0
	v_addc_co_u32_e32 v7, vcc, v1, v2, vcc
	global_store_dwordx2 v[6:7], v[16:17], off
	s_waitcnt vmcnt(0)
	global_atomic_cmpswap_x2 v[2:3], v8, v[14:17], s[10:11] offset:32 glc
	s_waitcnt vmcnt(0)
	v_cmp_ne_u64_e32 vcc, v[2:3], v[16:17]
	s_and_saveexec_b64 s[14:15], vcc
	s_cbranch_execz .LBB1_267
; %bb.265:
	s_mov_b64 s[16:17], 0
.LBB1_266:                              ; =>This Inner Loop Header: Depth=1
	s_sleep 1
	global_store_dwordx2 v[6:7], v[2:3], off
	v_mov_b32_e32 v0, s6
	v_mov_b32_e32 v1, s7
	s_waitcnt vmcnt(0)
	global_atomic_cmpswap_x2 v[0:1], v8, v[0:3], s[10:11] offset:32 glc
	s_waitcnt vmcnt(0)
	v_cmp_eq_u64_e32 vcc, v[0:1], v[2:3]
	v_mov_b32_e32 v3, v1
	s_or_b64 s[16:17], vcc, s[16:17]
	v_mov_b32_e32 v2, v0
	s_andn2_b64 exec, exec, s[16:17]
	s_cbranch_execnz .LBB1_266
.LBB1_267:
	s_or_b64 exec, exec, s[14:15]
	v_mov_b32_e32 v3, 0
	global_load_dwordx2 v[0:1], v3, s[10:11] offset:16
	s_mov_b64 s[14:15], exec
	v_mbcnt_lo_u32_b32 v2, s14, 0
	v_mbcnt_hi_u32_b32 v2, s15, v2
	v_cmp_eq_u32_e32 vcc, 0, v2
	s_and_saveexec_b64 s[16:17], vcc
	s_cbranch_execz .LBB1_269
; %bb.268:
	s_bcnt1_i32_b64 s14, s[14:15]
	v_mov_b32_e32 v2, s14
	s_waitcnt vmcnt(0)
	global_atomic_add_x2 v[0:1], v[2:3], off offset:8
.LBB1_269:
	s_or_b64 exec, exec, s[16:17]
	s_waitcnt vmcnt(0)
	global_load_dwordx2 v[2:3], v[0:1], off offset:16
	s_waitcnt vmcnt(0)
	v_cmp_eq_u64_e32 vcc, 0, v[2:3]
	s_cbranch_vccnz .LBB1_271
; %bb.270:
	global_load_dword v0, v[0:1], off offset:24
	v_mov_b32_e32 v1, 0
	s_waitcnt vmcnt(0)
	v_readfirstlane_b32 s14, v0
	s_and_b32 m0, s14, 0xffffff
	global_store_dwordx2 v[2:3], v[0:1], off
	s_sendmsg sendmsg(MSG_INTERRUPT)
.LBB1_271:
	s_or_b64 exec, exec, s[12:13]
	s_branch .LBB1_275
.LBB1_272:                              ;   in Loop: Header=BB1_275 Depth=1
	s_or_b64 exec, exec, s[12:13]
	v_readfirstlane_b32 s12, v0
	s_cmp_eq_u32 s12, 0
	s_cbranch_scc1 .LBB1_274
; %bb.273:                              ;   in Loop: Header=BB1_275 Depth=1
	s_sleep 1
	s_cbranch_execnz .LBB1_275
	s_branch .LBB1_277
.LBB1_274:
	s_branch .LBB1_277
.LBB1_275:                              ; =>This Inner Loop Header: Depth=1
	v_mov_b32_e32 v0, 1
	s_and_saveexec_b64 s[12:13], s[4:5]
	s_cbranch_execz .LBB1_272
; %bb.276:                              ;   in Loop: Header=BB1_275 Depth=1
	global_load_dword v0, v[10:11], off offset:20 glc
	s_waitcnt vmcnt(0)
	buffer_wbinvl1_vol
	v_and_b32_e32 v0, 1, v0
	s_branch .LBB1_272
.LBB1_277:
	global_load_dwordx2 v[0:1], v[12:13], off
	s_and_saveexec_b64 s[12:13], s[4:5]
	s_cbranch_execz .LBB1_280
; %bb.278:
	v_mov_b32_e32 v10, 0
	global_load_dwordx2 v[2:3], v10, s[10:11] offset:40
	global_load_dwordx2 v[13:14], v10, s[10:11] offset:24 glc
	global_load_dwordx2 v[6:7], v10, s[10:11]
	s_waitcnt vmcnt(2)
	v_readfirstlane_b32 s14, v2
	v_readfirstlane_b32 s15, v3
	s_add_u32 s16, s14, 1
	s_addc_u32 s17, s15, 0
	s_add_u32 s4, s16, s6
	s_addc_u32 s5, s17, s7
	s_cmp_eq_u64 s[4:5], 0
	s_cselect_b32 s5, s17, s5
	s_cselect_b32 s4, s16, s4
	s_and_b64 s[6:7], s[4:5], s[14:15]
	s_mul_i32 s7, s7, 24
	s_mul_hi_u32 s14, s6, 24
	s_mul_i32 s6, s6, 24
	s_add_i32 s7, s14, s7
	v_mov_b32_e32 v3, s7
	s_waitcnt vmcnt(0)
	v_add_co_u32_e32 v2, vcc, s6, v6
	v_addc_co_u32_e32 v3, vcc, v7, v3, vcc
	v_mov_b32_e32 v11, s4
	global_store_dwordx2 v[2:3], v[13:14], off
	v_mov_b32_e32 v12, s5
	s_waitcnt vmcnt(0)
	global_atomic_cmpswap_x2 v[8:9], v10, v[11:14], s[10:11] offset:24 glc
	s_mov_b64 s[6:7], 0
	s_waitcnt vmcnt(0)
	v_cmp_ne_u64_e32 vcc, v[8:9], v[13:14]
	s_and_b64 exec, exec, vcc
	s_cbranch_execz .LBB1_280
.LBB1_279:                              ; =>This Inner Loop Header: Depth=1
	s_sleep 1
	global_store_dwordx2 v[2:3], v[8:9], off
	v_mov_b32_e32 v6, s4
	v_mov_b32_e32 v7, s5
	s_waitcnt vmcnt(0)
	global_atomic_cmpswap_x2 v[6:7], v10, v[6:9], s[10:11] offset:24 glc
	s_waitcnt vmcnt(0)
	v_cmp_eq_u64_e32 vcc, v[6:7], v[8:9]
	v_mov_b32_e32 v9, v7
	s_or_b64 s[6:7], vcc, s[6:7]
	v_mov_b32_e32 v8, v6
	s_andn2_b64 exec, exec, s[6:7]
	s_cbranch_execnz .LBB1_279
.LBB1_280:
	s_or_b64 exec, exec, s[12:13]
	v_mov_b32_e32 v7, v5
	s_mov_b64 s[4:5], 0
	v_mov_b32_e32 v6, v4
.LBB1_281:                              ; =>This Inner Loop Header: Depth=1
	global_load_ubyte v8, v[6:7], off
	v_add_co_u32_e32 v2, vcc, 1, v6
	v_addc_co_u32_e32 v3, vcc, 0, v7, vcc
	v_mov_b32_e32 v7, v3
	v_mov_b32_e32 v6, v2
	s_waitcnt vmcnt(0)
	v_cmp_eq_u16_e32 vcc, 0, v8
	s_or_b64 s[4:5], vcc, s[4:5]
	s_andn2_b64 exec, exec, s[4:5]
	s_cbranch_execnz .LBB1_281
; %bb.282:
	s_or_b64 exec, exec, s[4:5]
	v_cmp_ne_u64_e32 vcc, 0, v[4:5]
	s_mov_b64 s[12:13], 0
	s_and_saveexec_b64 s[4:5], vcc
	s_xor_b64 s[6:7], exec, s[4:5]
	s_cbranch_execz .LBB1_368
; %bb.283:
	v_sub_u32_e32 v26, v2, v4
	v_ashrrev_i32_e32 v27, 31, v26
	v_and_b32_e32 v36, 2, v0
	v_mov_b32_e32 v29, 0
	v_and_b32_e32 v0, -3, v0
	s_mov_b32 s22, 0
	s_movk_i32 s23, 0x1e0
	v_mov_b32_e32 v8, 2
	v_mov_b32_e32 v9, 1
	s_branch .LBB1_285
.LBB1_284:                              ;   in Loop: Header=BB1_285 Depth=1
	s_or_b64 exec, exec, s[16:17]
	v_sub_co_u32_e32 v26, vcc, v26, v30
	v_subb_co_u32_e32 v27, vcc, v27, v31, vcc
	v_cmp_eq_u64_e32 vcc, 0, v[26:27]
	s_or_b64 s[12:13], vcc, s[12:13]
	v_add_co_u32_e32 v4, vcc, v4, v30
	v_addc_co_u32_e32 v5, vcc, v5, v31, vcc
	s_andn2_b64 exec, exec, s[12:13]
	s_cbranch_execz .LBB1_367
.LBB1_285:                              ; =>This Loop Header: Depth=1
                                        ;     Child Loop BB1_288 Depth 2
                                        ;     Child Loop BB1_296 Depth 2
	;; [unrolled: 1-line block ×11, first 2 shown]
	v_cmp_gt_u64_e32 vcc, 56, v[26:27]
	v_add_co_u32_e64 v12, s[4:5], 8, v4
	v_cndmask_b32_e32 v31, 0, v27, vcc
	v_cndmask_b32_e32 v30, 56, v26, vcc
	v_cmp_gt_u64_e32 vcc, 8, v[26:27]
	v_addc_co_u32_e64 v13, s[4:5], 0, v5, s[4:5]
	s_and_saveexec_b64 s[4:5], vcc
	s_xor_b64 s[4:5], exec, s[4:5]
	s_cbranch_execz .LBB1_291
; %bb.286:                              ;   in Loop: Header=BB1_285 Depth=1
	v_mov_b32_e32 v2, 0
	v_cmp_ne_u64_e32 vcc, 0, v[26:27]
	v_mov_b32_e32 v3, 0
	s_and_saveexec_b64 s[14:15], vcc
	s_cbranch_execz .LBB1_290
; %bb.287:                              ;   in Loop: Header=BB1_285 Depth=1
	v_lshlrev_b64 v[6:7], 3, v[30:31]
	v_mov_b32_e32 v2, 0
	v_mov_b32_e32 v11, v5
	s_mov_b64 s[16:17], 0
	v_mov_b32_e32 v3, 0
	v_mov_b32_e32 v10, v4
	s_mov_b64 s[18:19], 0
.LBB1_288:                              ;   Parent Loop BB1_285 Depth=1
                                        ; =>  This Inner Loop Header: Depth=2
	global_load_ubyte v7, v[10:11], off
	v_mov_b32_e32 v13, s22
	v_add_co_u32_e32 v10, vcc, 1, v10
	v_addc_co_u32_e32 v11, vcc, 0, v11, vcc
	s_waitcnt vmcnt(0)
	v_and_b32_e32 v12, 0xffff, v7
	v_lshlrev_b64 v[12:13], s18, v[12:13]
	s_add_u32 s18, s18, 8
	s_addc_u32 s19, s19, 0
	v_cmp_eq_u32_e32 vcc, s18, v6
	v_or_b32_e32 v3, v13, v3
	s_or_b64 s[16:17], vcc, s[16:17]
	v_or_b32_e32 v2, v12, v2
	s_andn2_b64 exec, exec, s[16:17]
	s_cbranch_execnz .LBB1_288
; %bb.289:                              ;   in Loop: Header=BB1_285 Depth=1
	s_or_b64 exec, exec, s[16:17]
.LBB1_290:                              ;   in Loop: Header=BB1_285 Depth=1
	s_or_b64 exec, exec, s[14:15]
	v_mov_b32_e32 v13, v5
	v_mov_b32_e32 v12, v4
.LBB1_291:                              ;   in Loop: Header=BB1_285 Depth=1
	s_or_saveexec_b64 s[4:5], s[4:5]
	v_mov_b32_e32 v14, 0
	s_xor_b64 exec, exec, s[4:5]
	s_cbranch_execz .LBB1_293
; %bb.292:                              ;   in Loop: Header=BB1_285 Depth=1
	global_load_dwordx2 v[2:3], v[4:5], off
	v_add_u32_e32 v14, -8, v30
.LBB1_293:                              ;   in Loop: Header=BB1_285 Depth=1
	s_or_b64 exec, exec, s[4:5]
	v_add_co_u32_e64 v6, s[4:5], 8, v12
	v_cmp_gt_u32_e32 vcc, 8, v14
	v_addc_co_u32_e64 v7, s[4:5], 0, v13, s[4:5]
                                        ; implicit-def: $vgpr10_vgpr11
	s_and_saveexec_b64 s[4:5], vcc
	s_xor_b64 s[4:5], exec, s[4:5]
	s_cbranch_execz .LBB1_299
; %bb.294:                              ;   in Loop: Header=BB1_285 Depth=1
	v_mov_b32_e32 v10, 0
	v_mov_b32_e32 v11, 0
	v_cmp_ne_u32_e32 vcc, 0, v14
	s_and_saveexec_b64 s[14:15], vcc
	s_cbranch_execz .LBB1_298
; %bb.295:                              ;   in Loop: Header=BB1_285 Depth=1
	v_mov_b32_e32 v10, 0
	s_mov_b64 s[16:17], 0
	v_mov_b32_e32 v11, 0
	s_mov_b64 s[18:19], 0
	s_mov_b64 s[20:21], 0
.LBB1_296:                              ;   Parent Loop BB1_285 Depth=1
                                        ; =>  This Inner Loop Header: Depth=2
	v_mov_b32_e32 v7, s21
	v_add_co_u32_e32 v6, vcc, s20, v12
	v_addc_co_u32_e32 v7, vcc, v13, v7, vcc
	global_load_ubyte v6, v[6:7], off
	s_add_u32 s20, s20, 1
	v_mov_b32_e32 v7, s22
	s_addc_u32 s21, s21, 0
	v_cmp_eq_u32_e32 vcc, s20, v14
	s_waitcnt vmcnt(0)
	v_and_b32_e32 v6, 0xffff, v6
	v_lshlrev_b64 v[6:7], s18, v[6:7]
	s_add_u32 s18, s18, 8
	s_addc_u32 s19, s19, 0
	v_or_b32_e32 v11, v7, v11
	s_or_b64 s[16:17], vcc, s[16:17]
	v_or_b32_e32 v10, v6, v10
	s_andn2_b64 exec, exec, s[16:17]
	s_cbranch_execnz .LBB1_296
; %bb.297:                              ;   in Loop: Header=BB1_285 Depth=1
	s_or_b64 exec, exec, s[16:17]
.LBB1_298:                              ;   in Loop: Header=BB1_285 Depth=1
	s_or_b64 exec, exec, s[14:15]
	v_mov_b32_e32 v6, v12
	v_mov_b32_e32 v7, v13
                                        ; implicit-def: $vgpr14
.LBB1_299:                              ;   in Loop: Header=BB1_285 Depth=1
	s_or_saveexec_b64 s[4:5], s[4:5]
	v_mov_b32_e32 v15, 0
	s_xor_b64 exec, exec, s[4:5]
	s_cbranch_execz .LBB1_301
; %bb.300:                              ;   in Loop: Header=BB1_285 Depth=1
	global_load_dwordx2 v[10:11], v[12:13], off
	v_add_u32_e32 v15, -8, v14
.LBB1_301:                              ;   in Loop: Header=BB1_285 Depth=1
	s_or_b64 exec, exec, s[4:5]
	v_add_co_u32_e64 v16, s[4:5], 8, v6
	v_cmp_gt_u32_e32 vcc, 8, v15
	v_addc_co_u32_e64 v17, s[4:5], 0, v7, s[4:5]
	s_and_saveexec_b64 s[4:5], vcc
	s_xor_b64 s[4:5], exec, s[4:5]
	s_cbranch_execz .LBB1_307
; %bb.302:                              ;   in Loop: Header=BB1_285 Depth=1
	v_mov_b32_e32 v12, 0
	v_mov_b32_e32 v13, 0
	v_cmp_ne_u32_e32 vcc, 0, v15
	s_and_saveexec_b64 s[14:15], vcc
	s_cbranch_execz .LBB1_306
; %bb.303:                              ;   in Loop: Header=BB1_285 Depth=1
	v_mov_b32_e32 v12, 0
	s_mov_b64 s[16:17], 0
	v_mov_b32_e32 v13, 0
	s_mov_b64 s[18:19], 0
	s_mov_b64 s[20:21], 0
.LBB1_304:                              ;   Parent Loop BB1_285 Depth=1
                                        ; =>  This Inner Loop Header: Depth=2
	v_mov_b32_e32 v14, s21
	v_add_co_u32_e32 v16, vcc, s20, v6
	v_addc_co_u32_e32 v17, vcc, v7, v14, vcc
	global_load_ubyte v14, v[16:17], off
	s_add_u32 s20, s20, 1
	v_mov_b32_e32 v17, s22
	s_addc_u32 s21, s21, 0
	v_cmp_eq_u32_e32 vcc, s20, v15
	s_waitcnt vmcnt(0)
	v_and_b32_e32 v16, 0xffff, v14
	v_lshlrev_b64 v[16:17], s18, v[16:17]
	s_add_u32 s18, s18, 8
	s_addc_u32 s19, s19, 0
	v_or_b32_e32 v13, v17, v13
	s_or_b64 s[16:17], vcc, s[16:17]
	v_or_b32_e32 v12, v16, v12
	s_andn2_b64 exec, exec, s[16:17]
	s_cbranch_execnz .LBB1_304
; %bb.305:                              ;   in Loop: Header=BB1_285 Depth=1
	s_or_b64 exec, exec, s[16:17]
.LBB1_306:                              ;   in Loop: Header=BB1_285 Depth=1
	s_or_b64 exec, exec, s[14:15]
	v_mov_b32_e32 v17, v7
	v_mov_b32_e32 v16, v6
                                        ; implicit-def: $vgpr15
.LBB1_307:                              ;   in Loop: Header=BB1_285 Depth=1
	s_or_saveexec_b64 s[4:5], s[4:5]
	v_mov_b32_e32 v18, 0
	s_xor_b64 exec, exec, s[4:5]
	s_cbranch_execz .LBB1_309
; %bb.308:                              ;   in Loop: Header=BB1_285 Depth=1
	global_load_dwordx2 v[12:13], v[6:7], off
	v_add_u32_e32 v18, -8, v15
.LBB1_309:                              ;   in Loop: Header=BB1_285 Depth=1
	s_or_b64 exec, exec, s[4:5]
	v_add_co_u32_e64 v6, s[4:5], 8, v16
	v_cmp_gt_u32_e32 vcc, 8, v18
	v_addc_co_u32_e64 v7, s[4:5], 0, v17, s[4:5]
                                        ; implicit-def: $vgpr14_vgpr15
	s_and_saveexec_b64 s[4:5], vcc
	s_xor_b64 s[4:5], exec, s[4:5]
	s_cbranch_execz .LBB1_315
; %bb.310:                              ;   in Loop: Header=BB1_285 Depth=1
	v_mov_b32_e32 v14, 0
	v_mov_b32_e32 v15, 0
	v_cmp_ne_u32_e32 vcc, 0, v18
	s_and_saveexec_b64 s[14:15], vcc
	s_cbranch_execz .LBB1_314
; %bb.311:                              ;   in Loop: Header=BB1_285 Depth=1
	v_mov_b32_e32 v14, 0
	s_mov_b64 s[16:17], 0
	v_mov_b32_e32 v15, 0
	s_mov_b64 s[18:19], 0
	s_mov_b64 s[20:21], 0
.LBB1_312:                              ;   Parent Loop BB1_285 Depth=1
                                        ; =>  This Inner Loop Header: Depth=2
	v_mov_b32_e32 v7, s21
	v_add_co_u32_e32 v6, vcc, s20, v16
	v_addc_co_u32_e32 v7, vcc, v17, v7, vcc
	global_load_ubyte v6, v[6:7], off
	s_add_u32 s20, s20, 1
	v_mov_b32_e32 v7, s22
	s_addc_u32 s21, s21, 0
	v_cmp_eq_u32_e32 vcc, s20, v18
	s_waitcnt vmcnt(0)
	v_and_b32_e32 v6, 0xffff, v6
	v_lshlrev_b64 v[6:7], s18, v[6:7]
	s_add_u32 s18, s18, 8
	s_addc_u32 s19, s19, 0
	v_or_b32_e32 v15, v7, v15
	s_or_b64 s[16:17], vcc, s[16:17]
	v_or_b32_e32 v14, v6, v14
	s_andn2_b64 exec, exec, s[16:17]
	s_cbranch_execnz .LBB1_312
; %bb.313:                              ;   in Loop: Header=BB1_285 Depth=1
	s_or_b64 exec, exec, s[16:17]
.LBB1_314:                              ;   in Loop: Header=BB1_285 Depth=1
	s_or_b64 exec, exec, s[14:15]
	v_mov_b32_e32 v6, v16
	v_mov_b32_e32 v7, v17
                                        ; implicit-def: $vgpr18
.LBB1_315:                              ;   in Loop: Header=BB1_285 Depth=1
	s_or_saveexec_b64 s[4:5], s[4:5]
	v_mov_b32_e32 v19, 0
	s_xor_b64 exec, exec, s[4:5]
	s_cbranch_execz .LBB1_317
; %bb.316:                              ;   in Loop: Header=BB1_285 Depth=1
	global_load_dwordx2 v[14:15], v[16:17], off
	v_add_u32_e32 v19, -8, v18
.LBB1_317:                              ;   in Loop: Header=BB1_285 Depth=1
	s_or_b64 exec, exec, s[4:5]
	v_add_co_u32_e64 v20, s[4:5], 8, v6
	v_cmp_gt_u32_e32 vcc, 8, v19
	v_addc_co_u32_e64 v21, s[4:5], 0, v7, s[4:5]
	s_and_saveexec_b64 s[4:5], vcc
	s_xor_b64 s[4:5], exec, s[4:5]
	s_cbranch_execz .LBB1_323
; %bb.318:                              ;   in Loop: Header=BB1_285 Depth=1
	v_mov_b32_e32 v16, 0
	v_mov_b32_e32 v17, 0
	v_cmp_ne_u32_e32 vcc, 0, v19
	s_and_saveexec_b64 s[14:15], vcc
	s_cbranch_execz .LBB1_322
; %bb.319:                              ;   in Loop: Header=BB1_285 Depth=1
	v_mov_b32_e32 v16, 0
	s_mov_b64 s[16:17], 0
	v_mov_b32_e32 v17, 0
	s_mov_b64 s[18:19], 0
	s_mov_b64 s[20:21], 0
.LBB1_320:                              ;   Parent Loop BB1_285 Depth=1
                                        ; =>  This Inner Loop Header: Depth=2
	v_mov_b32_e32 v18, s21
	v_add_co_u32_e32 v20, vcc, s20, v6
	v_addc_co_u32_e32 v21, vcc, v7, v18, vcc
	global_load_ubyte v18, v[20:21], off
	s_add_u32 s20, s20, 1
	v_mov_b32_e32 v21, s22
	s_addc_u32 s21, s21, 0
	v_cmp_eq_u32_e32 vcc, s20, v19
	s_waitcnt vmcnt(0)
	v_and_b32_e32 v20, 0xffff, v18
	v_lshlrev_b64 v[20:21], s18, v[20:21]
	s_add_u32 s18, s18, 8
	s_addc_u32 s19, s19, 0
	v_or_b32_e32 v17, v21, v17
	s_or_b64 s[16:17], vcc, s[16:17]
	v_or_b32_e32 v16, v20, v16
	s_andn2_b64 exec, exec, s[16:17]
	s_cbranch_execnz .LBB1_320
; %bb.321:                              ;   in Loop: Header=BB1_285 Depth=1
	s_or_b64 exec, exec, s[16:17]
.LBB1_322:                              ;   in Loop: Header=BB1_285 Depth=1
	s_or_b64 exec, exec, s[14:15]
	v_mov_b32_e32 v21, v7
	v_mov_b32_e32 v20, v6
                                        ; implicit-def: $vgpr19
.LBB1_323:                              ;   in Loop: Header=BB1_285 Depth=1
	s_or_saveexec_b64 s[4:5], s[4:5]
	v_mov_b32_e32 v22, 0
	s_xor_b64 exec, exec, s[4:5]
	s_cbranch_execz .LBB1_325
; %bb.324:                              ;   in Loop: Header=BB1_285 Depth=1
	global_load_dwordx2 v[16:17], v[6:7], off
	v_add_u32_e32 v22, -8, v19
.LBB1_325:                              ;   in Loop: Header=BB1_285 Depth=1
	s_or_b64 exec, exec, s[4:5]
	v_add_co_u32_e64 v6, s[4:5], 8, v20
	v_cmp_gt_u32_e32 vcc, 8, v22
	v_addc_co_u32_e64 v7, s[4:5], 0, v21, s[4:5]
                                        ; implicit-def: $vgpr18_vgpr19
	s_and_saveexec_b64 s[4:5], vcc
	s_xor_b64 s[4:5], exec, s[4:5]
	s_cbranch_execz .LBB1_331
; %bb.326:                              ;   in Loop: Header=BB1_285 Depth=1
	v_mov_b32_e32 v18, 0
	v_mov_b32_e32 v19, 0
	v_cmp_ne_u32_e32 vcc, 0, v22
	s_and_saveexec_b64 s[14:15], vcc
	s_cbranch_execz .LBB1_330
; %bb.327:                              ;   in Loop: Header=BB1_285 Depth=1
	v_mov_b32_e32 v18, 0
	s_mov_b64 s[16:17], 0
	v_mov_b32_e32 v19, 0
	s_mov_b64 s[18:19], 0
	s_mov_b64 s[20:21], 0
.LBB1_328:                              ;   Parent Loop BB1_285 Depth=1
                                        ; =>  This Inner Loop Header: Depth=2
	v_mov_b32_e32 v7, s21
	v_add_co_u32_e32 v6, vcc, s20, v20
	v_addc_co_u32_e32 v7, vcc, v21, v7, vcc
	global_load_ubyte v6, v[6:7], off
	s_add_u32 s20, s20, 1
	v_mov_b32_e32 v7, s22
	s_addc_u32 s21, s21, 0
	v_cmp_eq_u32_e32 vcc, s20, v22
	s_waitcnt vmcnt(0)
	v_and_b32_e32 v6, 0xffff, v6
	v_lshlrev_b64 v[6:7], s18, v[6:7]
	s_add_u32 s18, s18, 8
	s_addc_u32 s19, s19, 0
	v_or_b32_e32 v19, v7, v19
	s_or_b64 s[16:17], vcc, s[16:17]
	v_or_b32_e32 v18, v6, v18
	s_andn2_b64 exec, exec, s[16:17]
	s_cbranch_execnz .LBB1_328
; %bb.329:                              ;   in Loop: Header=BB1_285 Depth=1
	s_or_b64 exec, exec, s[16:17]
.LBB1_330:                              ;   in Loop: Header=BB1_285 Depth=1
	s_or_b64 exec, exec, s[14:15]
	v_mov_b32_e32 v6, v20
	v_mov_b32_e32 v7, v21
                                        ; implicit-def: $vgpr22
.LBB1_331:                              ;   in Loop: Header=BB1_285 Depth=1
	s_or_saveexec_b64 s[4:5], s[4:5]
	v_mov_b32_e32 v23, 0
	s_xor_b64 exec, exec, s[4:5]
	s_cbranch_execz .LBB1_333
; %bb.332:                              ;   in Loop: Header=BB1_285 Depth=1
	global_load_dwordx2 v[18:19], v[20:21], off
	v_add_u32_e32 v23, -8, v22
.LBB1_333:                              ;   in Loop: Header=BB1_285 Depth=1
	s_or_b64 exec, exec, s[4:5]
	v_cmp_gt_u32_e32 vcc, 8, v23
	s_and_saveexec_b64 s[4:5], vcc
	s_xor_b64 s[4:5], exec, s[4:5]
	s_cbranch_execz .LBB1_339
; %bb.334:                              ;   in Loop: Header=BB1_285 Depth=1
	v_mov_b32_e32 v20, 0
	v_mov_b32_e32 v21, 0
	v_cmp_ne_u32_e32 vcc, 0, v23
	s_and_saveexec_b64 s[14:15], vcc
	s_cbranch_execz .LBB1_338
; %bb.335:                              ;   in Loop: Header=BB1_285 Depth=1
	v_mov_b32_e32 v20, 0
	s_mov_b64 s[16:17], 0
	v_mov_b32_e32 v21, 0
	s_mov_b64 s[18:19], 0
.LBB1_336:                              ;   Parent Loop BB1_285 Depth=1
                                        ; =>  This Inner Loop Header: Depth=2
	global_load_ubyte v22, v[6:7], off
	v_mov_b32_e32 v25, s22
	v_add_co_u32_e32 v6, vcc, 1, v6
	v_add_u32_e32 v23, -1, v23
	v_addc_co_u32_e32 v7, vcc, 0, v7, vcc
	v_cmp_eq_u32_e32 vcc, 0, v23
	s_waitcnt vmcnt(0)
	v_and_b32_e32 v24, 0xffff, v22
	v_lshlrev_b64 v[24:25], s18, v[24:25]
	s_add_u32 s18, s18, 8
	s_addc_u32 s19, s19, 0
	v_or_b32_e32 v21, v25, v21
	s_or_b64 s[16:17], vcc, s[16:17]
	v_or_b32_e32 v20, v24, v20
	s_andn2_b64 exec, exec, s[16:17]
	s_cbranch_execnz .LBB1_336
; %bb.337:                              ;   in Loop: Header=BB1_285 Depth=1
	s_or_b64 exec, exec, s[16:17]
.LBB1_338:                              ;   in Loop: Header=BB1_285 Depth=1
	s_or_b64 exec, exec, s[14:15]
                                        ; implicit-def: $vgpr6_vgpr7
.LBB1_339:                              ;   in Loop: Header=BB1_285 Depth=1
	s_andn2_saveexec_b64 s[4:5], s[4:5]
	s_cbranch_execz .LBB1_341
; %bb.340:                              ;   in Loop: Header=BB1_285 Depth=1
	global_load_dwordx2 v[20:21], v[6:7], off
.LBB1_341:                              ;   in Loop: Header=BB1_285 Depth=1
	s_or_b64 exec, exec, s[4:5]
	v_readfirstlane_b32 s4, v34
	v_mov_b32_e32 v6, 0
	v_mov_b32_e32 v7, 0
	v_cmp_eq_u32_e64 s[4:5], s4, v34
	s_and_saveexec_b64 s[14:15], s[4:5]
	s_cbranch_execz .LBB1_347
; %bb.342:                              ;   in Loop: Header=BB1_285 Depth=1
	global_load_dwordx2 v[24:25], v29, s[10:11] offset:24 glc
	s_waitcnt vmcnt(0)
	buffer_wbinvl1_vol
	global_load_dwordx2 v[6:7], v29, s[10:11] offset:40
	global_load_dwordx2 v[22:23], v29, s[10:11]
	s_waitcnt vmcnt(1)
	v_and_b32_e32 v6, v6, v24
	v_and_b32_e32 v7, v7, v25
	v_mul_lo_u32 v7, v7, 24
	v_mul_hi_u32 v28, v6, 24
	v_mul_lo_u32 v6, v6, 24
	v_add_u32_e32 v7, v28, v7
	s_waitcnt vmcnt(0)
	v_add_co_u32_e32 v6, vcc, v22, v6
	v_addc_co_u32_e32 v7, vcc, v23, v7, vcc
	global_load_dwordx2 v[22:23], v[6:7], off glc
	s_waitcnt vmcnt(0)
	global_atomic_cmpswap_x2 v[6:7], v29, v[22:25], s[10:11] offset:24 glc
	s_waitcnt vmcnt(0)
	buffer_wbinvl1_vol
	v_cmp_ne_u64_e32 vcc, v[6:7], v[24:25]
	s_and_saveexec_b64 s[16:17], vcc
	s_cbranch_execz .LBB1_346
; %bb.343:                              ;   in Loop: Header=BB1_285 Depth=1
	s_mov_b64 s[18:19], 0
.LBB1_344:                              ;   Parent Loop BB1_285 Depth=1
                                        ; =>  This Inner Loop Header: Depth=2
	s_sleep 1
	global_load_dwordx2 v[22:23], v29, s[10:11] offset:40
	global_load_dwordx2 v[32:33], v29, s[10:11]
	v_mov_b32_e32 v25, v7
	v_mov_b32_e32 v24, v6
	s_waitcnt vmcnt(1)
	v_and_b32_e32 v6, v22, v24
	s_waitcnt vmcnt(0)
	v_mad_u64_u32 v[6:7], s[20:21], v6, 24, v[32:33]
	v_and_b32_e32 v22, v23, v25
	v_mad_u64_u32 v[22:23], s[20:21], v22, 24, v[7:8]
	v_mov_b32_e32 v7, v22
	global_load_dwordx2 v[22:23], v[6:7], off glc
	s_waitcnt vmcnt(0)
	global_atomic_cmpswap_x2 v[6:7], v29, v[22:25], s[10:11] offset:24 glc
	s_waitcnt vmcnt(0)
	buffer_wbinvl1_vol
	v_cmp_eq_u64_e32 vcc, v[6:7], v[24:25]
	s_or_b64 s[18:19], vcc, s[18:19]
	s_andn2_b64 exec, exec, s[18:19]
	s_cbranch_execnz .LBB1_344
; %bb.345:                              ;   in Loop: Header=BB1_285 Depth=1
	s_or_b64 exec, exec, s[18:19]
.LBB1_346:                              ;   in Loop: Header=BB1_285 Depth=1
	s_or_b64 exec, exec, s[16:17]
.LBB1_347:                              ;   in Loop: Header=BB1_285 Depth=1
	s_or_b64 exec, exec, s[14:15]
	global_load_dwordx2 v[32:33], v29, s[10:11] offset:40
	global_load_dwordx4 v[22:25], v29, s[10:11]
	v_readfirstlane_b32 s15, v7
	v_readfirstlane_b32 s14, v6
	s_mov_b64 s[16:17], exec
	s_waitcnt vmcnt(1)
	v_readfirstlane_b32 s18, v32
	v_readfirstlane_b32 s19, v33
	s_and_b64 s[18:19], s[18:19], s[14:15]
	s_mul_i32 s20, s19, 24
	s_mul_hi_u32 s21, s18, 24
	s_mul_i32 s24, s18, 24
	s_add_i32 s20, s21, s20
	v_mov_b32_e32 v6, s20
	s_waitcnt vmcnt(0)
	v_add_co_u32_e32 v32, vcc, s24, v22
	v_addc_co_u32_e32 v33, vcc, v23, v6, vcc
	s_and_saveexec_b64 s[20:21], s[4:5]
	s_cbranch_execz .LBB1_349
; %bb.348:                              ;   in Loop: Header=BB1_285 Depth=1
	v_mov_b32_e32 v6, s16
	v_mov_b32_e32 v7, s17
	global_store_dwordx4 v[32:33], v[6:9], off offset:8
.LBB1_349:                              ;   in Loop: Header=BB1_285 Depth=1
	s_or_b64 exec, exec, s[20:21]
	s_lshl_b64 s[16:17], s[18:19], 12
	v_mov_b32_e32 v6, s17
	v_add_co_u32_e32 v24, vcc, s16, v24
	v_addc_co_u32_e32 v25, vcc, v25, v6, vcc
	v_cmp_gt_u64_e32 vcc, 57, v[26:27]
	v_and_b32_e32 v0, 0xffffff1f, v0
	v_cndmask_b32_e32 v6, 0, v36, vcc
	v_lshl_add_u32 v7, v30, 2, 28
	v_or_b32_e32 v0, v0, v6
	v_and_or_b32 v0, v7, s23, v0
	v_readfirstlane_b32 s16, v24
	v_readfirstlane_b32 s17, v25
	s_nop 4
	global_store_dwordx4 v35, v[0:3], s[16:17]
	global_store_dwordx4 v35, v[10:13], s[16:17] offset:16
	global_store_dwordx4 v35, v[14:17], s[16:17] offset:32
	global_store_dwordx4 v35, v[18:21], s[16:17] offset:48
	s_and_saveexec_b64 s[16:17], s[4:5]
	s_cbranch_execz .LBB1_357
; %bb.350:                              ;   in Loop: Header=BB1_285 Depth=1
	global_load_dwordx2 v[12:13], v29, s[10:11] offset:32 glc
	global_load_dwordx2 v[0:1], v29, s[10:11] offset:40
	v_mov_b32_e32 v10, s14
	v_mov_b32_e32 v11, s15
	s_waitcnt vmcnt(0)
	v_readfirstlane_b32 s18, v0
	v_readfirstlane_b32 s19, v1
	s_and_b64 s[18:19], s[18:19], s[14:15]
	s_mul_i32 s19, s19, 24
	s_mul_hi_u32 s20, s18, 24
	s_mul_i32 s18, s18, 24
	s_add_i32 s19, s20, s19
	v_mov_b32_e32 v0, s19
	v_add_co_u32_e32 v6, vcc, s18, v22
	v_addc_co_u32_e32 v7, vcc, v23, v0, vcc
	global_store_dwordx2 v[6:7], v[12:13], off
	s_waitcnt vmcnt(0)
	global_atomic_cmpswap_x2 v[2:3], v29, v[10:13], s[10:11] offset:32 glc
	s_waitcnt vmcnt(0)
	v_cmp_ne_u64_e32 vcc, v[2:3], v[12:13]
	s_and_saveexec_b64 s[18:19], vcc
	s_cbranch_execz .LBB1_353
; %bb.351:                              ;   in Loop: Header=BB1_285 Depth=1
	s_mov_b64 s[20:21], 0
.LBB1_352:                              ;   Parent Loop BB1_285 Depth=1
                                        ; =>  This Inner Loop Header: Depth=2
	s_sleep 1
	global_store_dwordx2 v[6:7], v[2:3], off
	v_mov_b32_e32 v0, s14
	v_mov_b32_e32 v1, s15
	s_waitcnt vmcnt(0)
	global_atomic_cmpswap_x2 v[0:1], v29, v[0:3], s[10:11] offset:32 glc
	s_waitcnt vmcnt(0)
	v_cmp_eq_u64_e32 vcc, v[0:1], v[2:3]
	v_mov_b32_e32 v3, v1
	s_or_b64 s[20:21], vcc, s[20:21]
	v_mov_b32_e32 v2, v0
	s_andn2_b64 exec, exec, s[20:21]
	s_cbranch_execnz .LBB1_352
.LBB1_353:                              ;   in Loop: Header=BB1_285 Depth=1
	s_or_b64 exec, exec, s[18:19]
	global_load_dwordx2 v[0:1], v29, s[10:11] offset:16
	s_mov_b64 s[20:21], exec
	v_mbcnt_lo_u32_b32 v2, s20, 0
	v_mbcnt_hi_u32_b32 v2, s21, v2
	v_cmp_eq_u32_e32 vcc, 0, v2
	s_and_saveexec_b64 s[18:19], vcc
	s_cbranch_execz .LBB1_355
; %bb.354:                              ;   in Loop: Header=BB1_285 Depth=1
	s_bcnt1_i32_b64 s20, s[20:21]
	v_mov_b32_e32 v28, s20
	s_waitcnt vmcnt(0)
	global_atomic_add_x2 v[0:1], v[28:29], off offset:8
.LBB1_355:                              ;   in Loop: Header=BB1_285 Depth=1
	s_or_b64 exec, exec, s[18:19]
	s_waitcnt vmcnt(0)
	global_load_dwordx2 v[2:3], v[0:1], off offset:16
	s_waitcnt vmcnt(0)
	v_cmp_eq_u64_e32 vcc, 0, v[2:3]
	s_cbranch_vccnz .LBB1_357
; %bb.356:                              ;   in Loop: Header=BB1_285 Depth=1
	global_load_dword v28, v[0:1], off offset:24
	s_waitcnt vmcnt(0)
	v_readfirstlane_b32 s18, v28
	s_and_b32 m0, s18, 0xffffff
	global_store_dwordx2 v[2:3], v[28:29], off
	s_sendmsg sendmsg(MSG_INTERRUPT)
.LBB1_357:                              ;   in Loop: Header=BB1_285 Depth=1
	s_or_b64 exec, exec, s[16:17]
	v_add_co_u32_e32 v0, vcc, v24, v35
	v_addc_co_u32_e32 v1, vcc, 0, v25, vcc
	s_branch .LBB1_361
.LBB1_358:                              ;   in Loop: Header=BB1_361 Depth=2
	s_or_b64 exec, exec, s[16:17]
	v_readfirstlane_b32 s16, v2
	s_cmp_eq_u32 s16, 0
	s_cbranch_scc1 .LBB1_360
; %bb.359:                              ;   in Loop: Header=BB1_361 Depth=2
	s_sleep 1
	s_cbranch_execnz .LBB1_361
	s_branch .LBB1_363
.LBB1_360:                              ;   in Loop: Header=BB1_285 Depth=1
	s_branch .LBB1_363
.LBB1_361:                              ;   Parent Loop BB1_285 Depth=1
                                        ; =>  This Inner Loop Header: Depth=2
	v_mov_b32_e32 v2, 1
	s_and_saveexec_b64 s[16:17], s[4:5]
	s_cbranch_execz .LBB1_358
; %bb.362:                              ;   in Loop: Header=BB1_361 Depth=2
	global_load_dword v2, v[32:33], off offset:20 glc
	s_waitcnt vmcnt(0)
	buffer_wbinvl1_vol
	v_and_b32_e32 v2, 1, v2
	s_branch .LBB1_358
.LBB1_363:                              ;   in Loop: Header=BB1_285 Depth=1
	global_load_dwordx2 v[0:1], v[0:1], off
	s_and_saveexec_b64 s[16:17], s[4:5]
	s_cbranch_execz .LBB1_284
; %bb.364:                              ;   in Loop: Header=BB1_285 Depth=1
	global_load_dwordx2 v[2:3], v29, s[10:11] offset:40
	global_load_dwordx2 v[14:15], v29, s[10:11] offset:24 glc
	global_load_dwordx2 v[6:7], v29, s[10:11]
	s_waitcnt vmcnt(2)
	v_readfirstlane_b32 s18, v2
	v_readfirstlane_b32 s19, v3
	s_add_u32 s20, s18, 1
	s_addc_u32 s21, s19, 0
	s_add_u32 s4, s20, s14
	s_addc_u32 s5, s21, s15
	s_cmp_eq_u64 s[4:5], 0
	s_cselect_b32 s5, s21, s5
	s_cselect_b32 s4, s20, s4
	s_and_b64 s[14:15], s[4:5], s[18:19]
	s_mul_i32 s15, s15, 24
	s_mul_hi_u32 s18, s14, 24
	s_mul_i32 s14, s14, 24
	s_add_i32 s15, s18, s15
	v_mov_b32_e32 v3, s15
	s_waitcnt vmcnt(0)
	v_add_co_u32_e32 v2, vcc, s14, v6
	v_addc_co_u32_e32 v3, vcc, v7, v3, vcc
	v_mov_b32_e32 v12, s4
	global_store_dwordx2 v[2:3], v[14:15], off
	v_mov_b32_e32 v13, s5
	s_waitcnt vmcnt(0)
	global_atomic_cmpswap_x2 v[12:13], v29, v[12:15], s[10:11] offset:24 glc
	s_waitcnt vmcnt(0)
	v_cmp_ne_u64_e32 vcc, v[12:13], v[14:15]
	s_and_b64 exec, exec, vcc
	s_cbranch_execz .LBB1_284
; %bb.365:                              ;   in Loop: Header=BB1_285 Depth=1
	s_mov_b64 s[14:15], 0
.LBB1_366:                              ;   Parent Loop BB1_285 Depth=1
                                        ; =>  This Inner Loop Header: Depth=2
	s_sleep 1
	global_store_dwordx2 v[2:3], v[12:13], off
	v_mov_b32_e32 v10, s4
	v_mov_b32_e32 v11, s5
	s_waitcnt vmcnt(0)
	global_atomic_cmpswap_x2 v[6:7], v29, v[10:13], s[10:11] offset:24 glc
	s_waitcnt vmcnt(0)
	v_cmp_eq_u64_e32 vcc, v[6:7], v[12:13]
	v_mov_b32_e32 v13, v7
	s_or_b64 s[14:15], vcc, s[14:15]
	v_mov_b32_e32 v12, v6
	s_andn2_b64 exec, exec, s[14:15]
	s_cbranch_execnz .LBB1_366
	s_branch .LBB1_284
.LBB1_367:
	s_or_b64 exec, exec, s[12:13]
                                        ; implicit-def: $vgpr35
                                        ; implicit-def: $vgpr34
.LBB1_368:
	s_andn2_saveexec_b64 s[6:7], s[6:7]
	s_cbranch_execz .LBB1_395
; %bb.369:
	v_readfirstlane_b32 s4, v34
	v_mov_b32_e32 v8, 0
	v_mov_b32_e32 v9, 0
	v_cmp_eq_u32_e64 s[4:5], s4, v34
	s_and_saveexec_b64 s[12:13], s[4:5]
	s_cbranch_execz .LBB1_375
; %bb.370:
	v_mov_b32_e32 v2, 0
	global_load_dwordx2 v[5:6], v2, s[10:11] offset:24 glc
	s_waitcnt vmcnt(0)
	buffer_wbinvl1_vol
	global_load_dwordx2 v[3:4], v2, s[10:11] offset:40
	global_load_dwordx2 v[7:8], v2, s[10:11]
	s_waitcnt vmcnt(1)
	v_and_b32_e32 v3, v3, v5
	v_and_b32_e32 v4, v4, v6
	v_mul_lo_u32 v4, v4, 24
	v_mul_hi_u32 v9, v3, 24
	v_mul_lo_u32 v3, v3, 24
	v_add_u32_e32 v4, v9, v4
	s_waitcnt vmcnt(0)
	v_add_co_u32_e32 v3, vcc, v7, v3
	v_addc_co_u32_e32 v4, vcc, v8, v4, vcc
	global_load_dwordx2 v[3:4], v[3:4], off glc
	s_waitcnt vmcnt(0)
	global_atomic_cmpswap_x2 v[8:9], v2, v[3:6], s[10:11] offset:24 glc
	s_waitcnt vmcnt(0)
	buffer_wbinvl1_vol
	v_cmp_ne_u64_e32 vcc, v[8:9], v[5:6]
	s_and_saveexec_b64 s[14:15], vcc
	s_cbranch_execz .LBB1_374
; %bb.371:
	s_mov_b64 s[16:17], 0
.LBB1_372:                              ; =>This Inner Loop Header: Depth=1
	s_sleep 1
	global_load_dwordx2 v[3:4], v2, s[10:11] offset:40
	global_load_dwordx2 v[10:11], v2, s[10:11]
	v_mov_b32_e32 v5, v8
	v_mov_b32_e32 v6, v9
	s_waitcnt vmcnt(1)
	v_and_b32_e32 v3, v3, v5
	s_waitcnt vmcnt(0)
	v_mad_u64_u32 v[7:8], s[18:19], v3, 24, v[10:11]
	v_and_b32_e32 v4, v4, v6
	v_mov_b32_e32 v3, v8
	v_mad_u64_u32 v[3:4], s[18:19], v4, 24, v[3:4]
	v_mov_b32_e32 v8, v3
	global_load_dwordx2 v[3:4], v[7:8], off glc
	s_waitcnt vmcnt(0)
	global_atomic_cmpswap_x2 v[8:9], v2, v[3:6], s[10:11] offset:24 glc
	s_waitcnt vmcnt(0)
	buffer_wbinvl1_vol
	v_cmp_eq_u64_e32 vcc, v[8:9], v[5:6]
	s_or_b64 s[16:17], vcc, s[16:17]
	s_andn2_b64 exec, exec, s[16:17]
	s_cbranch_execnz .LBB1_372
; %bb.373:
	s_or_b64 exec, exec, s[16:17]
.LBB1_374:
	s_or_b64 exec, exec, s[14:15]
.LBB1_375:
	s_or_b64 exec, exec, s[12:13]
	v_mov_b32_e32 v2, 0
	global_load_dwordx2 v[10:11], v2, s[10:11] offset:40
	global_load_dwordx4 v[4:7], v2, s[10:11]
	v_readfirstlane_b32 s13, v9
	v_readfirstlane_b32 s12, v8
	s_mov_b64 s[14:15], exec
	s_waitcnt vmcnt(1)
	v_readfirstlane_b32 s16, v10
	v_readfirstlane_b32 s17, v11
	s_and_b64 s[16:17], s[16:17], s[12:13]
	s_mul_i32 s18, s17, 24
	s_mul_hi_u32 s19, s16, 24
	s_mul_i32 s20, s16, 24
	s_add_i32 s18, s19, s18
	v_mov_b32_e32 v3, s18
	s_waitcnt vmcnt(0)
	v_add_co_u32_e32 v8, vcc, s20, v4
	v_addc_co_u32_e32 v9, vcc, v5, v3, vcc
	s_and_saveexec_b64 s[18:19], s[4:5]
	s_cbranch_execz .LBB1_377
; %bb.376:
	v_mov_b32_e32 v10, s14
	v_mov_b32_e32 v11, s15
	;; [unrolled: 1-line block ×4, first 2 shown]
	global_store_dwordx4 v[8:9], v[10:13], off offset:8
.LBB1_377:
	s_or_b64 exec, exec, s[18:19]
	s_lshl_b64 s[14:15], s[16:17], 12
	v_mov_b32_e32 v3, s15
	v_add_co_u32_e32 v10, vcc, s14, v6
	v_addc_co_u32_e32 v11, vcc, v7, v3, vcc
	s_movk_i32 s14, 0xff1f
	v_and_or_b32 v0, v0, s14, 32
	s_mov_b32 s16, 0
	v_mov_b32_e32 v3, v2
	v_readfirstlane_b32 s14, v10
	v_readfirstlane_b32 s15, v11
	v_add_co_u32_e32 v6, vcc, v10, v35
	s_mov_b32 s17, s16
	s_mov_b32 s18, s16
	;; [unrolled: 1-line block ×3, first 2 shown]
	s_nop 0
	global_store_dwordx4 v35, v[0:3], s[14:15]
	v_addc_co_u32_e32 v7, vcc, 0, v11, vcc
	v_mov_b32_e32 v0, s16
	v_mov_b32_e32 v1, s17
	;; [unrolled: 1-line block ×4, first 2 shown]
	global_store_dwordx4 v35, v[0:3], s[14:15] offset:16
	global_store_dwordx4 v35, v[0:3], s[14:15] offset:32
	;; [unrolled: 1-line block ×3, first 2 shown]
	s_and_saveexec_b64 s[14:15], s[4:5]
	s_cbranch_execz .LBB1_385
; %bb.378:
	v_mov_b32_e32 v10, 0
	global_load_dwordx2 v[13:14], v10, s[10:11] offset:32 glc
	global_load_dwordx2 v[0:1], v10, s[10:11] offset:40
	v_mov_b32_e32 v11, s12
	v_mov_b32_e32 v12, s13
	s_waitcnt vmcnt(0)
	v_readfirstlane_b32 s16, v0
	v_readfirstlane_b32 s17, v1
	s_and_b64 s[16:17], s[16:17], s[12:13]
	s_mul_i32 s17, s17, 24
	s_mul_hi_u32 s18, s16, 24
	s_mul_i32 s16, s16, 24
	s_add_i32 s17, s18, s17
	v_mov_b32_e32 v0, s17
	v_add_co_u32_e32 v4, vcc, s16, v4
	v_addc_co_u32_e32 v5, vcc, v5, v0, vcc
	global_store_dwordx2 v[4:5], v[13:14], off
	s_waitcnt vmcnt(0)
	global_atomic_cmpswap_x2 v[2:3], v10, v[11:14], s[10:11] offset:32 glc
	s_waitcnt vmcnt(0)
	v_cmp_ne_u64_e32 vcc, v[2:3], v[13:14]
	s_and_saveexec_b64 s[16:17], vcc
	s_cbranch_execz .LBB1_381
; %bb.379:
	s_mov_b64 s[18:19], 0
.LBB1_380:                              ; =>This Inner Loop Header: Depth=1
	s_sleep 1
	global_store_dwordx2 v[4:5], v[2:3], off
	v_mov_b32_e32 v0, s12
	v_mov_b32_e32 v1, s13
	s_waitcnt vmcnt(0)
	global_atomic_cmpswap_x2 v[0:1], v10, v[0:3], s[10:11] offset:32 glc
	s_waitcnt vmcnt(0)
	v_cmp_eq_u64_e32 vcc, v[0:1], v[2:3]
	v_mov_b32_e32 v3, v1
	s_or_b64 s[18:19], vcc, s[18:19]
	v_mov_b32_e32 v2, v0
	s_andn2_b64 exec, exec, s[18:19]
	s_cbranch_execnz .LBB1_380
.LBB1_381:
	s_or_b64 exec, exec, s[16:17]
	v_mov_b32_e32 v3, 0
	global_load_dwordx2 v[0:1], v3, s[10:11] offset:16
	s_mov_b64 s[16:17], exec
	v_mbcnt_lo_u32_b32 v2, s16, 0
	v_mbcnt_hi_u32_b32 v2, s17, v2
	v_cmp_eq_u32_e32 vcc, 0, v2
	s_and_saveexec_b64 s[18:19], vcc
	s_cbranch_execz .LBB1_383
; %bb.382:
	s_bcnt1_i32_b64 s16, s[16:17]
	v_mov_b32_e32 v2, s16
	s_waitcnt vmcnt(0)
	global_atomic_add_x2 v[0:1], v[2:3], off offset:8
.LBB1_383:
	s_or_b64 exec, exec, s[18:19]
	s_waitcnt vmcnt(0)
	global_load_dwordx2 v[2:3], v[0:1], off offset:16
	s_waitcnt vmcnt(0)
	v_cmp_eq_u64_e32 vcc, 0, v[2:3]
	s_cbranch_vccnz .LBB1_385
; %bb.384:
	global_load_dword v0, v[0:1], off offset:24
	v_mov_b32_e32 v1, 0
	s_waitcnt vmcnt(0)
	v_readfirstlane_b32 s16, v0
	s_and_b32 m0, s16, 0xffffff
	global_store_dwordx2 v[2:3], v[0:1], off
	s_sendmsg sendmsg(MSG_INTERRUPT)
.LBB1_385:
	s_or_b64 exec, exec, s[14:15]
	s_branch .LBB1_389
.LBB1_386:                              ;   in Loop: Header=BB1_389 Depth=1
	s_or_b64 exec, exec, s[14:15]
	v_readfirstlane_b32 s14, v0
	s_cmp_eq_u32 s14, 0
	s_cbranch_scc1 .LBB1_388
; %bb.387:                              ;   in Loop: Header=BB1_389 Depth=1
	s_sleep 1
	s_cbranch_execnz .LBB1_389
	s_branch .LBB1_391
.LBB1_388:
	s_branch .LBB1_391
.LBB1_389:                              ; =>This Inner Loop Header: Depth=1
	v_mov_b32_e32 v0, 1
	s_and_saveexec_b64 s[14:15], s[4:5]
	s_cbranch_execz .LBB1_386
; %bb.390:                              ;   in Loop: Header=BB1_389 Depth=1
	global_load_dword v0, v[8:9], off offset:20 glc
	s_waitcnt vmcnt(0)
	buffer_wbinvl1_vol
	v_and_b32_e32 v0, 1, v0
	s_branch .LBB1_386
.LBB1_391:
	global_load_dwordx2 v[0:1], v[6:7], off
	s_and_saveexec_b64 s[14:15], s[4:5]
	s_cbranch_execz .LBB1_394
; %bb.392:
	v_mov_b32_e32 v8, 0
	global_load_dwordx2 v[2:3], v8, s[10:11] offset:40
	global_load_dwordx2 v[11:12], v8, s[10:11] offset:24 glc
	global_load_dwordx2 v[4:5], v8, s[10:11]
	s_waitcnt vmcnt(2)
	v_readfirstlane_b32 s16, v2
	v_readfirstlane_b32 s17, v3
	s_add_u32 s18, s16, 1
	s_addc_u32 s19, s17, 0
	s_add_u32 s4, s18, s12
	s_addc_u32 s5, s19, s13
	s_cmp_eq_u64 s[4:5], 0
	s_cselect_b32 s5, s19, s5
	s_cselect_b32 s4, s18, s4
	s_and_b64 s[12:13], s[4:5], s[16:17]
	s_mul_i32 s13, s13, 24
	s_mul_hi_u32 s16, s12, 24
	s_mul_i32 s12, s12, 24
	s_add_i32 s13, s16, s13
	v_mov_b32_e32 v2, s13
	s_waitcnt vmcnt(0)
	v_add_co_u32_e32 v6, vcc, s12, v4
	v_addc_co_u32_e32 v7, vcc, v5, v2, vcc
	v_mov_b32_e32 v9, s4
	global_store_dwordx2 v[6:7], v[11:12], off
	v_mov_b32_e32 v10, s5
	s_waitcnt vmcnt(0)
	global_atomic_cmpswap_x2 v[4:5], v8, v[9:12], s[10:11] offset:24 glc
	s_mov_b64 s[12:13], 0
	s_waitcnt vmcnt(0)
	v_cmp_ne_u64_e32 vcc, v[4:5], v[11:12]
	s_and_b64 exec, exec, vcc
	s_cbranch_execz .LBB1_394
.LBB1_393:                              ; =>This Inner Loop Header: Depth=1
	s_sleep 1
	global_store_dwordx2 v[6:7], v[4:5], off
	v_mov_b32_e32 v2, s4
	v_mov_b32_e32 v3, s5
	s_waitcnt vmcnt(0)
	global_atomic_cmpswap_x2 v[2:3], v8, v[2:5], s[10:11] offset:24 glc
	s_waitcnt vmcnt(0)
	v_cmp_eq_u64_e32 vcc, v[2:3], v[4:5]
	v_mov_b32_e32 v5, v3
	s_or_b64 s[12:13], vcc, s[12:13]
	v_mov_b32_e32 v4, v2
	s_andn2_b64 exec, exec, s[12:13]
	s_cbranch_execnz .LBB1_393
.LBB1_394:
	s_or_b64 exec, exec, s[14:15]
.LBB1_395:
	s_or_b64 exec, exec, s[6:7]
	s_getpc_b64 s[4:5]
	s_add_u32 s4, s4, .str@rel32@lo+4
	s_addc_u32 s5, s5, .str@rel32@hi+12
	s_getpc_b64 s[6:7]
	s_add_u32 s6, s6, .str@rel32@lo+54
	s_addc_u32 s7, s7, .str@rel32@hi+62
	s_sub_i32 s10, s6, s4
	s_ashr_i32 s11, s10, 31
	s_getpc_b64 s[6:7]
	s_add_u32 s6, s6, __ockl_fprintf_append_string_n@rel32@lo+4
	s_addc_u32 s7, s7, __ockl_fprintf_append_string_n@rel32@hi+12
	v_mov_b32_e32 v2, s4
	v_mov_b32_e32 v3, s5
	;; [unrolled: 1-line block ×5, first 2 shown]
	s_swappc_b64 s[30:31], s[6:7]
	s_trap 2
.Lfunc_end1:
	.size	__assert_fail, .Lfunc_end1-__assert_fail
                                        ; -- End function
	.set .L__assert_fail.num_vgpr, max(41, .L__ockl_fprintf_append_string_n.num_vgpr)
	.set .L__assert_fail.num_agpr, max(0, .L__ockl_fprintf_append_string_n.num_agpr)
	.set .L__assert_fail.numbered_sgpr, max(34, .L__ockl_fprintf_append_string_n.numbered_sgpr)
	.set .L__assert_fail.num_named_barrier, max(0, .L__ockl_fprintf_append_string_n.num_named_barrier)
	.set .L__assert_fail.private_seg_size, 64+max(.L__ockl_fprintf_append_string_n.private_seg_size)
	.set .L__assert_fail.uses_vcc, or(1, .L__ockl_fprintf_append_string_n.uses_vcc)
	.set .L__assert_fail.uses_flat_scratch, or(0, .L__ockl_fprintf_append_string_n.uses_flat_scratch)
	.set .L__assert_fail.has_dyn_sized_stack, or(0, .L__ockl_fprintf_append_string_n.has_dyn_sized_stack)
	.set .L__assert_fail.has_recursion, or(0, .L__ockl_fprintf_append_string_n.has_recursion)
	.set .L__assert_fail.has_indirect_call, or(0, .L__ockl_fprintf_append_string_n.has_indirect_call)
	.section	.AMDGPU.csdata,"",@progbits
; Function info:
; codeLenInByte = 13872
; TotalNumSgprs: 38
; NumVgprs: 41
; ScratchSize: 64
; MemoryBound: 0
	.text
	.protected	Transform_S_S_111_16_16_VW_1 ; -- Begin function Transform_S_S_111_16_16_VW_1
	.globl	Transform_S_S_111_16_16_VW_1
	.p2align	8
	.type	Transform_S_S_111_16_16_VW_1,@function
Transform_S_S_111_16_16_VW_1:           ; @Transform_S_S_111_16_16_VW_1
; %bb.0:
	s_mov_b64 s[26:27], s[4:5]
	s_load_dword s4, s[4:5], 0x64
	s_add_u32 flat_scratch_lo, s6, s10
	s_addc_u32 flat_scratch_hi, s7, 0
	s_add_u32 s0, s0, s10
	s_addc_u32 s1, s1, 0
	s_waitcnt lgkmcnt(0)
	s_and_b32 s4, s4, 0xffff
	s_mov_b32 s28, s9
	s_mov_b32 s29, s8
	v_mov_b32_e32 v41, v0
	s_cmpk_eq_i32 s4, 0x100
	s_mov_b64 s[4:5], -1
	s_mov_b32 s32, 0
	s_cbranch_scc1 .LBB2_2
; %bb.1:
	s_add_u32 s8, s26, 0x58
	s_addc_u32 s9, s27, 0
	s_getpc_b64 s[4:5]
	s_add_u32 s4, s4, __PRETTY_FUNCTION__._ZN10amd_detail9transformIffLb1ELb1ELb1ELj16ELj16ELj1EEEvPT_PKS1_S4_T0_PKS5_S5_S7_jjjjjjbb@rel32@lo+4
	s_addc_u32 s5, s5, __PRETTY_FUNCTION__._ZN10amd_detail9transformIffLb1ELb1ELb1ELj16ELj16ELj1EEEvPT_PKS1_S4_T0_PKS5_S5_S7_jjjjjjbb@rel32@hi+12
	s_getpc_b64 s[6:7]
	s_add_u32 s6, s6, __assert_fail@rel32@lo+4
	s_addc_u32 s7, s7, __assert_fail@rel32@hi+12
	v_mov_b32_e32 v0, s4
	v_mov_b32_e32 v1, s5
	s_swappc_b64 s[30:31], s[6:7]
	s_mov_b64 s[4:5], 0
	; divergent unreachable
.LBB2_2:
	s_andn2_b64 vcc, exec, s[4:5]
	s_cbranch_vccnz .LBB2_13
; %bb.3:
	s_load_dwordx8 s[4:11], s[26:27], 0x38
	s_waitcnt lgkmcnt(0)
	s_lshr_b32 s11, s4, 4
	s_and_b32 s12, s4, 15
	s_cmp_lg_u32 s12, 0
	s_cselect_b64 s[12:13], -1, 0
	s_cmp_lg_u64 s[12:13], 0
	s_addc_u32 s11, s11, 0
	v_cvt_f32_u32_e32 v0, s11
	s_load_dword s15, s[26:27], 0x18
	s_load_dwordx2 s[12:13], s[26:27], 0x20
	s_sub_i32 s14, 0, s11
	v_rcp_iflag_f32_e32 v0, v0
	v_mul_f32_e32 v0, 0x4f7ffffe, v0
	v_cvt_u32_f32_e32 v0, v0
	v_readfirstlane_b32 s16, v0
	s_mul_i32 s14, s14, s16
	s_mul_hi_u32 s14, s16, s14
	s_add_i32 s16, s16, s14
	s_mul_hi_u32 s14, s29, s16
	s_waitcnt lgkmcnt(0)
	s_cmp_eq_u64 s[12:13], 0
	v_mov_b32_e32 v0, s15
	s_cbranch_scc1 .LBB2_5
; %bb.4:
	v_mov_b32_e32 v0, 0
	global_load_dword v0, v0, s[12:13]
.LBB2_5:
	s_load_dwordx2 s[12:13], s[26:27], 0x30
	s_load_dword s15, s[26:27], 0x28
	s_waitcnt lgkmcnt(0)
	s_cmp_eq_u64 s[12:13], 0
	v_mov_b32_e32 v1, s15
	s_cbranch_scc1 .LBB2_7
; %bb.6:
	v_mov_b32_e32 v1, 0
	global_load_dword v1, v1, s[12:13]
.LBB2_7:
	s_mul_i32 s12, s14, s11
	s_sub_i32 s12, s29, s12
	s_add_i32 s13, s14, 1
	s_sub_i32 s15, s12, s11
	s_cmp_ge_u32 s12, s11
	s_cselect_b32 s13, s13, s14
	s_cselect_b32 s12, s15, s12
	s_add_i32 s14, s13, 1
	s_cmp_ge_u32 s12, s11
	s_cselect_b32 s12, s14, s13
	s_mul_i32 s11, s12, s11
	s_sub_i32 s11, s29, s11
	v_and_b32_e32 v2, 15, v41
	v_lshrrev_b32_e32 v4, 4, v41
	v_lshl_or_b32 v3, s11, 4, v2
	v_lshl_add_u32 v2, s12, 4, v4
	v_cmp_gt_u32_e32 vcc, s4, v3
	v_cmp_gt_u32_e64 s[4:5], s5, v2
	s_and_b64 s[4:5], vcc, s[4:5]
	s_and_saveexec_b64 s[12:13], s[4:5]
	s_cbranch_execz .LBB2_13
; %bb.8:
	s_load_dwordx4 s[12:15], s[26:27], 0x0
	s_load_dwordx2 s[4:5], s[26:27], 0x10
	s_mul_i32 s9, s9, s28
	v_mov_b32_e32 v5, 0
	v_mov_b32_e32 v4, 0
	s_waitcnt lgkmcnt(0)
	s_cmp_eq_u64 s[14:15], 0
	s_cbranch_scc1 .LBB2_10
; %bb.9:
	s_bitcmp1_b32 s10, 0
	s_cselect_b64 vcc, -1, 0
	v_cndmask_b32_e32 v4, v3, v2, vcc
	v_mul_lo_u32 v4, v4, s6
	v_cndmask_b32_e32 v6, v2, v3, vcc
	v_mov_b32_e32 v7, 0
	v_add3_u32 v6, v6, s9, v4
	v_lshlrev_b64 v[6:7], 2, v[6:7]
	v_mov_b32_e32 v4, s15
	v_add_co_u32_e32 v6, vcc, s14, v6
	v_addc_co_u32_e32 v7, vcc, v4, v7, vcc
	global_load_dword v4, v[6:7], off
.LBB2_10:
	s_cmp_eq_u64 s[4:5], 0
	s_cbranch_scc1 .LBB2_12
; %bb.11:
	s_load_dword s6, s[26:27], 0x50
	v_mov_b32_e32 v6, 0
	v_mov_b32_e32 v7, s5
	s_waitcnt lgkmcnt(0)
	s_bitcmp1_b32 s6, 8
	s_cselect_b64 vcc, -1, 0
	v_cndmask_b32_e32 v5, v3, v2, vcc
	v_mul_lo_u32 v5, v5, s7
	v_cndmask_b32_e32 v8, v2, v3, vcc
	v_add3_u32 v5, v8, s9, v5
	v_lshlrev_b64 v[5:6], 2, v[5:6]
	v_add_co_u32_e32 v5, vcc, s4, v5
	v_addc_co_u32_e32 v6, vcc, v7, v6, vcc
	global_load_dword v5, v[5:6], off
.LBB2_12:
	v_mul_lo_u32 v3, v3, s8
	s_waitcnt vmcnt(0)
	v_mul_f32_e32 v5, v1, v5
	v_mov_b32_e32 v1, 0
	v_fmac_f32_e32 v5, v0, v4
	v_add3_u32 v0, v2, s9, v3
	v_lshlrev_b64 v[0:1], 2, v[0:1]
	v_mov_b32_e32 v2, s13
	v_add_co_u32_e32 v0, vcc, s12, v0
	v_addc_co_u32_e32 v1, vcc, v2, v1, vcc
	global_store_dword v[0:1], v5, off
.LBB2_13:
	s_endpgm
	.section	.rodata,"a",@progbits
	.p2align	6, 0x0
	.amdhsa_kernel Transform_S_S_111_16_16_VW_1
		.amdhsa_group_segment_fixed_size 0
		.amdhsa_private_segment_fixed_size 64
		.amdhsa_kernarg_size 344
		.amdhsa_user_sgpr_count 8
		.amdhsa_user_sgpr_private_segment_buffer 1
		.amdhsa_user_sgpr_dispatch_ptr 0
		.amdhsa_user_sgpr_queue_ptr 0
		.amdhsa_user_sgpr_kernarg_segment_ptr 1
		.amdhsa_user_sgpr_dispatch_id 0
		.amdhsa_user_sgpr_flat_scratch_init 1
		.amdhsa_user_sgpr_private_segment_size 0
		.amdhsa_uses_dynamic_stack 0
		.amdhsa_system_sgpr_private_segment_wavefront_offset 1
		.amdhsa_system_sgpr_workgroup_id_x 1
		.amdhsa_system_sgpr_workgroup_id_y 0
		.amdhsa_system_sgpr_workgroup_id_z 1
		.amdhsa_system_sgpr_workgroup_info 0
		.amdhsa_system_vgpr_workitem_id 0
		.amdhsa_next_free_vgpr 42
		.amdhsa_next_free_sgpr 34
		.amdhsa_reserve_vcc 1
		.amdhsa_reserve_flat_scratch 1
		.amdhsa_float_round_mode_32 0
		.amdhsa_float_round_mode_16_64 0
		.amdhsa_float_denorm_mode_32 3
		.amdhsa_float_denorm_mode_16_64 3
		.amdhsa_dx10_clamp 1
		.amdhsa_ieee_mode 1
		.amdhsa_fp16_overflow 0
		.amdhsa_exception_fp_ieee_invalid_op 0
		.amdhsa_exception_fp_denorm_src 0
		.amdhsa_exception_fp_ieee_div_zero 0
		.amdhsa_exception_fp_ieee_overflow 0
		.amdhsa_exception_fp_ieee_underflow 0
		.amdhsa_exception_fp_ieee_inexact 0
		.amdhsa_exception_int_div_zero 0
	.end_amdhsa_kernel
	.text
.Lfunc_end2:
	.size	Transform_S_S_111_16_16_VW_1, .Lfunc_end2-Transform_S_S_111_16_16_VW_1
                                        ; -- End function
	.set Transform_S_S_111_16_16_VW_1.num_vgpr, max(42, .L__assert_fail.num_vgpr)
	.set Transform_S_S_111_16_16_VW_1.num_agpr, max(0, .L__assert_fail.num_agpr)
	.set Transform_S_S_111_16_16_VW_1.numbered_sgpr, max(33, .L__assert_fail.numbered_sgpr)
	.set Transform_S_S_111_16_16_VW_1.num_named_barrier, max(0, .L__assert_fail.num_named_barrier)
	.set Transform_S_S_111_16_16_VW_1.private_seg_size, 0+max(.L__assert_fail.private_seg_size)
	.set Transform_S_S_111_16_16_VW_1.uses_vcc, or(1, .L__assert_fail.uses_vcc)
	.set Transform_S_S_111_16_16_VW_1.uses_flat_scratch, or(1, .L__assert_fail.uses_flat_scratch)
	.set Transform_S_S_111_16_16_VW_1.has_dyn_sized_stack, or(0, .L__assert_fail.has_dyn_sized_stack)
	.set Transform_S_S_111_16_16_VW_1.has_recursion, or(0, .L__assert_fail.has_recursion)
	.set Transform_S_S_111_16_16_VW_1.has_indirect_call, or(0, .L__assert_fail.has_indirect_call)
	.section	.AMDGPU.csdata,"",@progbits
; Kernel info:
; codeLenInByte = 660
; TotalNumSgprs: 40
; NumVgprs: 42
; ScratchSize: 64
; MemoryBound: 0
; FloatMode: 240
; IeeeMode: 1
; LDSByteSize: 0 bytes/workgroup (compile time only)
; SGPRBlocks: 4
; VGPRBlocks: 10
; NumSGPRsForWavesPerEU: 40
; NumVGPRsForWavesPerEU: 42
; Occupancy: 5
; WaveLimiterHint : 1
; COMPUTE_PGM_RSRC2:SCRATCH_EN: 1
; COMPUTE_PGM_RSRC2:USER_SGPR: 8
; COMPUTE_PGM_RSRC2:TRAP_HANDLER: 0
; COMPUTE_PGM_RSRC2:TGID_X_EN: 1
; COMPUTE_PGM_RSRC2:TGID_Y_EN: 0
; COMPUTE_PGM_RSRC2:TGID_Z_EN: 1
; COMPUTE_PGM_RSRC2:TIDIG_COMP_CNT: 0
	.text
	.protected	Transform_S_S_111_16_16_VW_4 ; -- Begin function Transform_S_S_111_16_16_VW_4
	.globl	Transform_S_S_111_16_16_VW_4
	.p2align	8
	.type	Transform_S_S_111_16_16_VW_4,@function
Transform_S_S_111_16_16_VW_4:           ; @Transform_S_S_111_16_16_VW_4
; %bb.0:
	s_mov_b64 s[26:27], s[4:5]
	s_load_dword s4, s[6:7], 0x64
	s_add_u32 flat_scratch_lo, s8, s12
	s_addc_u32 flat_scratch_hi, s9, 0
	s_add_u32 s0, s0, s12
	s_addc_u32 s1, s1, 0
	s_waitcnt lgkmcnt(0)
	s_and_b32 s4, s4, 0xffff
	s_mov_b32 s35, s11
	s_mov_b32 s34, s10
	s_mov_b64 s[28:29], s[6:7]
	v_mov_b32_e32 v41, v2
	v_mov_b32_e32 v43, v1
	;; [unrolled: 1-line block ×3, first 2 shown]
	s_cmpk_eq_i32 s4, 0x100
	s_mov_b64 s[4:5], -1
	s_mov_b32 s32, 0
	s_cbranch_scc1 .LBB3_2
; %bb.1:
	s_add_u32 s8, s28, 0x58
	s_addc_u32 s9, s29, 0
	s_getpc_b64 s[4:5]
	s_add_u32 s4, s4, __PRETTY_FUNCTION__._ZN10amd_detail9transformIffLb1ELb1ELb1ELj16ELj16ELj4EEEvPT_PKS1_S4_T0_PKS5_S5_S7_jjjjjjbb@rel32@lo+4
	s_addc_u32 s5, s5, __PRETTY_FUNCTION__._ZN10amd_detail9transformIffLb1ELb1ELb1ELj16ELj16ELj4EEEvPT_PKS1_S4_T0_PKS5_S5_S7_jjjjjjbb@rel32@hi+12
	s_getpc_b64 s[6:7]
	s_add_u32 s6, s6, __assert_fail@rel32@lo+4
	s_addc_u32 s7, s7, __assert_fail@rel32@hi+12
	v_mov_b32_e32 v0, s4
	v_mov_b32_e32 v1, s5
	s_swappc_b64 s[30:31], s[6:7]
	s_mov_b64 s[4:5], 0
	; divergent unreachable
.LBB3_2:
	s_andn2_b64 vcc, exec, s[4:5]
	s_cbranch_vccnz .LBB3_54
; %bb.3:
	s_load_dwordx4 s[12:15], s[28:29], 0x38
	s_waitcnt lgkmcnt(0)
	s_lshr_b32 s6, s12, 4
	s_and_b32 s4, s12, 15
	s_cmp_lg_u32 s4, 0
	s_cselect_b64 s[4:5], -1, 0
	s_cmp_lg_u64 s[4:5], 0
	s_addc_u32 s6, s6, 0
	v_cvt_f32_u32_e32 v0, s6
	s_load_dword s8, s[28:29], 0x18
	s_load_dwordx2 s[4:5], s[28:29], 0x20
	s_sub_i32 s7, 0, s6
	v_rcp_iflag_f32_e32 v0, v0
	s_waitcnt lgkmcnt(0)
	v_mov_b32_e32 v12, s8
	v_mul_f32_e32 v0, 0x4f7ffffe, v0
	v_cvt_u32_f32_e32 v0, v0
	v_readfirstlane_b32 s9, v0
	s_mul_i32 s7, s7, s9
	s_mul_hi_u32 s7, s9, s7
	s_add_i32 s9, s9, s7
	s_mul_hi_u32 s7, s34, s9
	s_cmp_eq_u64 s[4:5], 0
	s_cbranch_scc1 .LBB3_5
; %bb.4:
	v_mov_b32_e32 v0, 0
	global_load_dword v12, v0, s[4:5]
.LBB3_5:
	s_load_dwordx2 s[4:5], s[28:29], 0x30
	s_load_dword s8, s[28:29], 0x28
	s_waitcnt lgkmcnt(0)
	s_cmp_eq_u64 s[4:5], 0
	v_mov_b32_e32 v13, s8
	s_cbranch_scc1 .LBB3_7
; %bb.6:
	v_mov_b32_e32 v0, 0
	global_load_dword v13, v0, s[4:5]
.LBB3_7:
	s_mul_i32 s4, s7, s6
	s_sub_i32 s4, s34, s4
	s_add_i32 s5, s7, 1
	s_sub_i32 s8, s4, s6
	s_cmp_ge_u32 s4, s6
	s_cselect_b32 s5, s5, s7
	s_cselect_b32 s4, s8, s4
	s_add_i32 s7, s5, 1
	s_cmp_ge_u32 s4, s6
	s_cselect_b32 s30, s7, s5
	s_mul_i32 s31, s30, s6
	s_sub_i32 s4, s34, s31
	v_and_b32_e32 v7, 15, v42
	v_lshl_or_b32 v4, s4, 4, v7
	v_cmp_gt_u32_e32 vcc, s12, v4
	s_and_saveexec_b64 s[4:5], vcc
	s_cbranch_execz .LBB3_54
; %bb.8:
	v_lshrrev_b32_e32 v0, 2, v42
	s_lshl_b32 s12, s30, 6
	v_and_b32_e32 v9, 0xfc, v0
	s_load_dwordx4 s[20:23], s[28:29], 0x48
	v_add_u32_e32 v8, s12, v9
	v_add_u32_e32 v11, 4, v8
	v_sub_u32_e64 v10, v11, s13 clamp
	s_load_dwordx4 s[16:19], s[28:29], 0x0
	s_load_dwordx2 s[24:25], s[28:29], 0x10
	v_sub_u32_e32 v0, v8, v10
	v_mad_u64_u32 v[1:2], s[4:5], v4, s14, v[0:1]
	s_waitcnt lgkmcnt(0)
	s_bitcmp1_b32 s22, 0
	s_cselect_b64 vcc, -1, 0
	s_cmp_lg_u64 s[18:19], 0
	s_mul_i32 s21, s21, s35
	s_cselect_b64 s[10:11], -1, 0
	s_cmp_eq_u64 s[18:19], 0
	v_mov_b32_e32 v15, 0
	v_mov_b32_e32 v14, 0
	s_cbranch_scc1 .LBB3_10
; %bb.9:
	v_mad_u64_u32 v[2:3], s[4:5], v0, s14, v[4:5]
	v_mov_b32_e32 v3, 0
	v_mov_b32_e32 v5, s19
	v_cndmask_b32_e32 v2, v1, v2, vcc
	v_add_u32_e32 v2, s21, v2
	v_lshlrev_b64 v[2:3], 2, v[2:3]
	v_add_co_u32_e64 v2, s[4:5], s18, v2
	v_addc_co_u32_e64 v3, s[4:5], v5, v3, s[4:5]
	global_load_dword v14, v[2:3], off
.LBB3_10:
	s_load_dword s6, s[28:29], 0x50
	v_mad_u64_u32 v[2:3], s[4:5], v4, s15, v[0:1]
	s_xor_b64 s[8:9], vcc, -1
	v_mul_lo_u32 v3, v0, s15
	s_waitcnt lgkmcnt(0)
	s_bitcmp1_b32 s6, 8
	s_cselect_b64 s[6:7], -1, 0
	s_cmp_lg_u64 s[24:25], 0
	s_cselect_b64 s[22:23], -1, 0
	s_cmp_eq_u64 s[24:25], 0
	s_cbranch_scc1 .LBB3_12
; %bb.11:
	v_add_u32_e32 v5, v3, v4
	v_cndmask_b32_e64 v5, v2, v5, s[6:7]
	v_add_u32_e32 v5, s21, v5
	v_mov_b32_e32 v6, 0
	v_lshlrev_b64 v[5:6], 2, v[5:6]
	v_mov_b32_e32 v15, s25
	v_add_co_u32_e32 v5, vcc, s24, v5
	v_addc_co_u32_e32 v6, vcc, v15, v6, vcc
	global_load_dword v15, v[5:6], off
.LBB3_12:
	v_cndmask_b32_e64 v5, 0, 1, s[8:9]
	v_cmp_ne_u32_e64 s[4:5], 1, v5
	s_andn2_b64 vcc, exec, s[8:9]
	s_cbranch_vccnz .LBB3_14
; %bb.13:
	v_add_u32_e32 v5, 1, v1
	s_xor_b64 s[8:9], s[6:7], -1
	s_cbranch_execz .LBB3_15
	s_branch .LBB3_16
.LBB3_14:
                                        ; implicit-def: $vgpr5
	s_xor_b64 s[8:9], s[6:7], -1
.LBB3_15:
	v_mul_lo_u32 v5, s14, v0
	v_add3_u32 v5, v5, s14, v4
.LBB3_16:
	v_cndmask_b32_e64 v6, 0, 1, s[8:9]
	v_cmp_ne_u32_e64 s[6:7], 1, v6
	s_andn2_b64 vcc, exec, s[8:9]
	s_cbranch_vccnz .LBB3_18
; %bb.17:
	v_add_u32_e32 v6, 1, v2
	s_cbranch_execz .LBB3_19
	s_branch .LBB3_20
.LBB3_18:
                                        ; implicit-def: $vgpr6
.LBB3_19:
	v_add3_u32 v6, v3, s15, v4
.LBB3_20:
	v_cndmask_b32_e64 v16, 0, 1, s[10:11]
	v_mov_b32_e32 v17, 0
	v_cmp_ne_u32_e64 s[8:9], 1, v16
	s_andn2_b64 vcc, exec, s[10:11]
	v_mov_b32_e32 v16, 0
	s_cbranch_vccnz .LBB3_22
; %bb.21:
	v_add_u32_e32 v18, s21, v5
	v_mov_b32_e32 v19, 0
	v_lshlrev_b64 v[18:19], 2, v[18:19]
	v_mov_b32_e32 v5, s19
	v_add_co_u32_e32 v18, vcc, s18, v18
	v_addc_co_u32_e32 v19, vcc, v5, v19, vcc
	global_load_dword v16, v[18:19], off
.LBB3_22:
	v_cndmask_b32_e64 v5, 0, 1, s[22:23]
	v_cmp_ne_u32_e64 s[10:11], 1, v5
	s_andn2_b64 vcc, exec, s[22:23]
	s_cbranch_vccnz .LBB3_24
; %bb.23:
	v_add_u32_e32 v5, s21, v6
	v_mov_b32_e32 v6, 0
	v_lshlrev_b64 v[5:6], 2, v[5:6]
	v_mov_b32_e32 v17, s25
	v_add_co_u32_e32 v5, vcc, s24, v5
	v_addc_co_u32_e32 v6, vcc, v17, v6, vcc
	global_load_dword v17, v[5:6], off
.LBB3_24:
	s_and_b64 vcc, exec, s[4:5]
	s_cbranch_vccnz .LBB3_26
; %bb.25:
	v_add_u32_e32 v5, 2, v1
	s_cbranch_execz .LBB3_27
	s_branch .LBB3_28
.LBB3_26:
                                        ; implicit-def: $vgpr5
.LBB3_27:
	v_add_u32_e32 v5, 2, v0
	v_mad_u64_u32 v[5:6], s[22:23], v5, s14, v[4:5]
.LBB3_28:
	s_and_b64 vcc, exec, s[6:7]
	s_cbranch_vccnz .LBB3_30
; %bb.29:
	v_add_u32_e32 v6, 2, v2
	s_cbranch_execz .LBB3_31
	s_branch .LBB3_32
.LBB3_30:
                                        ; implicit-def: $vgpr6
.LBB3_31:
	s_lshl_b32 s22, s15, 1
	v_add3_u32 v6, v3, s22, v4
.LBB3_32:
	v_mov_b32_e32 v19, 0
	s_and_b64 vcc, exec, s[8:9]
	v_mov_b32_e32 v18, 0
	s_cbranch_vccnz .LBB3_34
; %bb.33:
	v_add_u32_e32 v20, s21, v5
	v_mov_b32_e32 v21, 0
	v_lshlrev_b64 v[20:21], 2, v[20:21]
	v_mov_b32_e32 v5, s19
	v_add_co_u32_e32 v20, vcc, s18, v20
	v_addc_co_u32_e32 v21, vcc, v5, v21, vcc
	global_load_dword v18, v[20:21], off
.LBB3_34:
	s_and_b64 vcc, exec, s[10:11]
	s_cbranch_vccnz .LBB3_36
; %bb.35:
	v_add_u32_e32 v5, s21, v6
	v_mov_b32_e32 v6, 0
	v_lshlrev_b64 v[5:6], 2, v[5:6]
	v_mov_b32_e32 v19, s25
	v_add_co_u32_e32 v5, vcc, s24, v5
	v_addc_co_u32_e32 v6, vcc, v19, v6, vcc
	global_load_dword v19, v[5:6], off
.LBB3_36:
	s_and_b64 vcc, exec, s[4:5]
	s_cbranch_vccnz .LBB3_38
; %bb.37:
	v_add_u32_e32 v5, 3, v1
	s_cbranch_execz .LBB3_39
	s_branch .LBB3_40
.LBB3_38:
                                        ; implicit-def: $vgpr5
.LBB3_39:
	v_add_u32_e32 v0, 3, v0
	v_mad_u64_u32 v[5:6], s[4:5], v0, s14, v[4:5]
.LBB3_40:
	s_and_b64 vcc, exec, s[6:7]
	s_cbranch_vccnz .LBB3_42
; %bb.41:
	v_add_u32_e32 v0, 3, v2
	s_cbranch_execz .LBB3_43
	s_branch .LBB3_44
.LBB3_42:
                                        ; implicit-def: $vgpr0
.LBB3_43:
	s_mul_i32 s4, s15, 3
	v_add3_u32 v0, v3, s4, v4
.LBB3_44:
	v_mov_b32_e32 v3, 0
	s_and_b64 vcc, exec, s[8:9]
	v_mov_b32_e32 v6, 0
	s_cbranch_vccnz .LBB3_46
; %bb.45:
	v_add_u32_e32 v1, s21, v5
	v_mov_b32_e32 v2, 0
	v_lshlrev_b64 v[1:2], 2, v[1:2]
	v_mov_b32_e32 v5, s19
	v_add_co_u32_e32 v1, vcc, s18, v1
	v_addc_co_u32_e32 v2, vcc, v5, v2, vcc
	global_load_dword v6, v[1:2], off
.LBB3_46:
	s_and_b64 vcc, exec, s[10:11]
	s_cbranch_vccnz .LBB3_48
; %bb.47:
	v_add_u32_e32 v0, s21, v0
	v_mov_b32_e32 v1, 0
	v_lshlrev_b64 v[0:1], 2, v[0:1]
	v_mov_b32_e32 v2, s25
	v_add_co_u32_e32 v0, vcc, s24, v0
	v_addc_co_u32_e32 v1, vcc, v2, v1, vcc
	global_load_dword v3, v[0:1], off
.LBB3_48:
	s_load_dwordx2 s[4:5], s[26:27], 0x4
	s_waitcnt vmcnt(0)
	v_mul_f32_e32 v0, v13, v15
	v_mul_f32_e32 v1, v13, v17
	;; [unrolled: 1-line block ×4, first 2 shown]
	s_waitcnt lgkmcnt(0)
	s_lshr_b32 s4, s4, 16
	s_mul_i32 s4, s4, s5
	v_mul_lo_u32 v5, s4, v42
	v_fmac_f32_e32 v0, v12, v14
	v_fmac_f32_e32 v1, v12, v16
	;; [unrolled: 1-line block ×3, first 2 shown]
	v_mad_u32_u24 v13, v43, s5, v5
	v_add_lshl_u32 v13, v13, v41, 4
	v_fmac_f32_e32 v3, v12, v6
	v_cmp_ge_u32_e32 vcc, s13, v11
	ds_write_b128 v13, v[0:3]
	s_and_saveexec_b64 s[6:7], vcc
	s_xor_b64 s[6:7], exec, s[6:7]
	s_cbranch_execz .LBB3_50
; %bb.49:
	v_mul_lo_u32 v4, v4, s20
	v_mov_b32_e32 v5, 0
	v_mov_b32_e32 v9, s17
                                        ; implicit-def: $vgpr11
                                        ; implicit-def: $vgpr42
                                        ; implicit-def: $vgpr43
                                        ; implicit-def: $vgpr41
	v_add3_u32 v4, v8, s21, v4
	v_sub_u32_e32 v4, v4, v10
	v_lshlrev_b64 v[6:7], 2, v[4:5]
                                        ; implicit-def: $vgpr8
                                        ; implicit-def: $vgpr10
	v_add_co_u32_e32 v6, vcc, s16, v6
	v_addc_co_u32_e32 v7, vcc, v9, v7, vcc
	global_store_dword v[6:7], v0, off
	v_add_u32_e32 v6, 1, v4
	v_mov_b32_e32 v7, v5
	v_lshlrev_b64 v[6:7], 2, v[6:7]
	v_mov_b32_e32 v0, s17
	v_add_co_u32_e32 v6, vcc, s16, v6
	v_addc_co_u32_e32 v7, vcc, v0, v7, vcc
	global_store_dword v[6:7], v1, off
	v_add_u32_e32 v0, 2, v4
	v_mov_b32_e32 v1, v5
	v_lshlrev_b64 v[0:1], 2, v[0:1]
	v_mov_b32_e32 v6, s17
	v_add_co_u32_e32 v0, vcc, s16, v0
	v_addc_co_u32_e32 v1, vcc, v6, v1, vcc
	v_add_u32_e32 v4, 3, v4
	global_store_dword v[0:1], v2, off
	v_lshlrev_b64 v[0:1], 2, v[4:5]
	v_mov_b32_e32 v2, s17
	v_add_co_u32_e32 v0, vcc, s16, v0
	v_addc_co_u32_e32 v1, vcc, v2, v1, vcc
	global_store_dword v[0:1], v3, off
                                        ; implicit-def: $vgpr7
                                        ; implicit-def: $vgpr9
                                        ; implicit-def: $vgpr5
.LBB3_50:
	s_andn2_saveexec_b64 s[6:7], s[6:7]
	s_cbranch_execz .LBB3_54
; %bb.51:
	v_cmp_gt_u32_e32 vcc, 4, v10
	s_and_b64 exec, exec, vcc
	s_cbranch_execz .LBB3_54
; %bb.52:
	v_lshl_or_b32 v0, s34, 4, v7
	s_lshl_b32 s4, s31, 4
	v_mul_u32_u24_e32 v1, s5, v43
	v_subrev_u32_e32 v0, s4, v0
	v_lshrrev_b32_e32 v4, 4, v42
	v_mul_lo_u32 v0, s20, v0
	v_add3_u32 v1, v1, v41, v4
	v_min_u32_e32 v3, s13, v11
	v_add_lshl_u32 v1, v1, v5, 4
	v_sub_u32_e32 v2, v8, v3
	v_lshl_add_u32 v1, s30, 8, v1
	v_lshlrev_b32_e32 v3, 2, v3
	s_add_i32 s12, s12, s21
	v_sub_u32_e32 v1, v1, v3
	v_add_u32_e32 v2, 3, v2
	v_add3_u32 v0, s12, v0, v9
	v_add_u32_e32 v3, 16, v1
	s_mov_b64 s[6:7], 0
	v_mov_b32_e32 v1, 0
	v_mov_b32_e32 v4, s17
.LBB3_53:                               ; =>This Inner Loop Header: Depth=1
	ds_read_b32 v7, v3
	v_lshlrev_b64 v[5:6], 2, v[0:1]
	v_add_u32_e32 v2, 1, v2
	v_cmp_lt_u32_e32 vcc, 2, v2
	v_add_co_u32_e64 v5, s[4:5], s16, v5
	v_add_u32_e32 v0, 1, v0
	v_add_u32_e32 v3, 4, v3
	v_addc_co_u32_e64 v6, s[4:5], v4, v6, s[4:5]
	s_or_b64 s[6:7], vcc, s[6:7]
	s_waitcnt lgkmcnt(0)
	global_store_dword v[5:6], v7, off
	s_andn2_b64 exec, exec, s[6:7]
	s_cbranch_execnz .LBB3_53
.LBB3_54:
	s_endpgm
	.section	.rodata,"a",@progbits
	.p2align	6, 0x0
	.amdhsa_kernel Transform_S_S_111_16_16_VW_4
		.amdhsa_group_segment_fixed_size 16384
		.amdhsa_private_segment_fixed_size 64
		.amdhsa_kernarg_size 344
		.amdhsa_user_sgpr_count 10
		.amdhsa_user_sgpr_private_segment_buffer 1
		.amdhsa_user_sgpr_dispatch_ptr 1
		.amdhsa_user_sgpr_queue_ptr 0
		.amdhsa_user_sgpr_kernarg_segment_ptr 1
		.amdhsa_user_sgpr_dispatch_id 0
		.amdhsa_user_sgpr_flat_scratch_init 1
		.amdhsa_user_sgpr_private_segment_size 0
		.amdhsa_uses_dynamic_stack 0
		.amdhsa_system_sgpr_private_segment_wavefront_offset 1
		.amdhsa_system_sgpr_workgroup_id_x 1
		.amdhsa_system_sgpr_workgroup_id_y 0
		.amdhsa_system_sgpr_workgroup_id_z 1
		.amdhsa_system_sgpr_workgroup_info 0
		.amdhsa_system_vgpr_workitem_id 2
		.amdhsa_next_free_vgpr 44
		.amdhsa_next_free_sgpr 36
		.amdhsa_reserve_vcc 1
		.amdhsa_reserve_flat_scratch 1
		.amdhsa_float_round_mode_32 0
		.amdhsa_float_round_mode_16_64 0
		.amdhsa_float_denorm_mode_32 3
		.amdhsa_float_denorm_mode_16_64 3
		.amdhsa_dx10_clamp 1
		.amdhsa_ieee_mode 1
		.amdhsa_fp16_overflow 0
		.amdhsa_exception_fp_ieee_invalid_op 0
		.amdhsa_exception_fp_denorm_src 0
		.amdhsa_exception_fp_ieee_div_zero 0
		.amdhsa_exception_fp_ieee_overflow 0
		.amdhsa_exception_fp_ieee_underflow 0
		.amdhsa_exception_fp_ieee_inexact 0
		.amdhsa_exception_int_div_zero 0
	.end_amdhsa_kernel
	.text
.Lfunc_end3:
	.size	Transform_S_S_111_16_16_VW_4, .Lfunc_end3-Transform_S_S_111_16_16_VW_4
                                        ; -- End function
	.set Transform_S_S_111_16_16_VW_4.num_vgpr, max(44, .L__assert_fail.num_vgpr)
	.set Transform_S_S_111_16_16_VW_4.num_agpr, max(0, .L__assert_fail.num_agpr)
	.set Transform_S_S_111_16_16_VW_4.numbered_sgpr, max(36, .L__assert_fail.numbered_sgpr)
	.set Transform_S_S_111_16_16_VW_4.num_named_barrier, max(0, .L__assert_fail.num_named_barrier)
	.set Transform_S_S_111_16_16_VW_4.private_seg_size, 0+max(.L__assert_fail.private_seg_size)
	.set Transform_S_S_111_16_16_VW_4.uses_vcc, or(1, .L__assert_fail.uses_vcc)
	.set Transform_S_S_111_16_16_VW_4.uses_flat_scratch, or(1, .L__assert_fail.uses_flat_scratch)
	.set Transform_S_S_111_16_16_VW_4.has_dyn_sized_stack, or(0, .L__assert_fail.has_dyn_sized_stack)
	.set Transform_S_S_111_16_16_VW_4.has_recursion, or(0, .L__assert_fail.has_recursion)
	.set Transform_S_S_111_16_16_VW_4.has_indirect_call, or(0, .L__assert_fail.has_indirect_call)
	.section	.AMDGPU.csdata,"",@progbits
; Kernel info:
; codeLenInByte = 1676
; TotalNumSgprs: 42
; NumVgprs: 44
; ScratchSize: 64
; MemoryBound: 0
; FloatMode: 240
; IeeeMode: 1
; LDSByteSize: 16384 bytes/workgroup (compile time only)
; SGPRBlocks: 5
; VGPRBlocks: 10
; NumSGPRsForWavesPerEU: 42
; NumVGPRsForWavesPerEU: 44
; Occupancy: 5
; WaveLimiterHint : 1
; COMPUTE_PGM_RSRC2:SCRATCH_EN: 1
; COMPUTE_PGM_RSRC2:USER_SGPR: 10
; COMPUTE_PGM_RSRC2:TRAP_HANDLER: 0
; COMPUTE_PGM_RSRC2:TGID_X_EN: 1
; COMPUTE_PGM_RSRC2:TGID_Y_EN: 0
; COMPUTE_PGM_RSRC2:TGID_Z_EN: 1
; COMPUTE_PGM_RSRC2:TIDIG_COMP_CNT: 2
	.text
	.protected	Transform_S_S_110_16_16_VW_1 ; -- Begin function Transform_S_S_110_16_16_VW_1
	.globl	Transform_S_S_110_16_16_VW_1
	.p2align	8
	.type	Transform_S_S_110_16_16_VW_1,@function
Transform_S_S_110_16_16_VW_1:           ; @Transform_S_S_110_16_16_VW_1
; %bb.0:
	s_mov_b64 s[26:27], s[4:5]
	s_load_dword s4, s[4:5], 0x64
	s_add_u32 flat_scratch_lo, s6, s10
	s_addc_u32 flat_scratch_hi, s7, 0
	s_add_u32 s0, s0, s10
	s_addc_u32 s1, s1, 0
	s_waitcnt lgkmcnt(0)
	s_and_b32 s4, s4, 0xffff
	s_mov_b32 s28, s9
	s_mov_b32 s29, s8
	v_mov_b32_e32 v41, v0
	s_cmpk_eq_i32 s4, 0x100
	s_mov_b64 s[4:5], -1
	s_mov_b32 s32, 0
	s_cbranch_scc1 .LBB4_2
; %bb.1:
	s_add_u32 s8, s26, 0x58
	s_addc_u32 s9, s27, 0
	s_getpc_b64 s[4:5]
	s_add_u32 s4, s4, __PRETTY_FUNCTION__._ZN10amd_detail9transformIffLb1ELb1ELb0ELj16ELj16ELj1EEEvPT_PKS1_S4_T0_PKS5_S5_S7_jjjjjjbb@rel32@lo+4
	s_addc_u32 s5, s5, __PRETTY_FUNCTION__._ZN10amd_detail9transformIffLb1ELb1ELb0ELj16ELj16ELj1EEEvPT_PKS1_S4_T0_PKS5_S5_S7_jjjjjjbb@rel32@hi+12
	s_getpc_b64 s[6:7]
	s_add_u32 s6, s6, __assert_fail@rel32@lo+4
	s_addc_u32 s7, s7, __assert_fail@rel32@hi+12
	v_mov_b32_e32 v0, s4
	v_mov_b32_e32 v1, s5
	s_swappc_b64 s[30:31], s[6:7]
	s_mov_b64 s[4:5], 0
	; divergent unreachable
.LBB4_2:
	s_andn2_b64 vcc, exec, s[4:5]
	s_cbranch_vccnz .LBB4_13
; %bb.3:
	s_load_dwordx8 s[4:11], s[26:27], 0x38
	s_waitcnt lgkmcnt(0)
	s_lshr_b32 s11, s4, 4
	s_and_b32 s12, s4, 15
	s_cmp_lg_u32 s12, 0
	s_cselect_b64 s[12:13], -1, 0
	s_cmp_lg_u64 s[12:13], 0
	s_addc_u32 s11, s11, 0
	v_cvt_f32_u32_e32 v0, s11
	s_load_dword s15, s[26:27], 0x18
	s_load_dwordx2 s[12:13], s[26:27], 0x20
	s_sub_i32 s14, 0, s11
	v_rcp_iflag_f32_e32 v0, v0
	v_mul_f32_e32 v0, 0x4f7ffffe, v0
	v_cvt_u32_f32_e32 v0, v0
	v_readfirstlane_b32 s16, v0
	s_mul_i32 s14, s14, s16
	s_mul_hi_u32 s14, s16, s14
	s_add_i32 s16, s16, s14
	s_mul_hi_u32 s14, s29, s16
	s_waitcnt lgkmcnt(0)
	s_cmp_eq_u64 s[12:13], 0
	v_mov_b32_e32 v0, s15
	s_cbranch_scc1 .LBB4_5
; %bb.4:
	v_mov_b32_e32 v0, 0
	global_load_dword v0, v0, s[12:13]
.LBB4_5:
	s_load_dwordx2 s[12:13], s[26:27], 0x30
	s_load_dword s15, s[26:27], 0x28
	s_waitcnt lgkmcnt(0)
	s_cmp_eq_u64 s[12:13], 0
	v_mov_b32_e32 v1, s15
	s_cbranch_scc1 .LBB4_7
; %bb.6:
	v_mov_b32_e32 v1, 0
	global_load_dword v1, v1, s[12:13]
.LBB4_7:
	s_mul_i32 s12, s14, s11
	s_sub_i32 s12, s29, s12
	s_add_i32 s13, s14, 1
	s_sub_i32 s15, s12, s11
	s_cmp_ge_u32 s12, s11
	s_cselect_b32 s13, s13, s14
	s_cselect_b32 s12, s15, s12
	s_add_i32 s14, s13, 1
	s_cmp_ge_u32 s12, s11
	s_cselect_b32 s12, s14, s13
	s_mul_i32 s11, s12, s11
	s_sub_i32 s11, s29, s11
	v_and_b32_e32 v2, 15, v41
	v_lshrrev_b32_e32 v3, 4, v41
	v_lshl_or_b32 v2, s11, 4, v2
	v_lshl_add_u32 v3, s12, 4, v3
	v_cmp_gt_u32_e32 vcc, s4, v2
	v_cmp_gt_u32_e64 s[4:5], s5, v3
	s_and_b64 s[4:5], vcc, s[4:5]
	s_and_saveexec_b64 s[12:13], s[4:5]
	s_cbranch_execz .LBB4_13
; %bb.8:
	s_load_dwordx4 s[12:15], s[26:27], 0x0
	s_load_dwordx2 s[4:5], s[26:27], 0x10
	s_mul_i32 s9, s9, s28
	v_mov_b32_e32 v5, 0
	v_mov_b32_e32 v4, 0
	s_waitcnt lgkmcnt(0)
	s_cmp_eq_u64 s[14:15], 0
	s_cbranch_scc1 .LBB4_10
; %bb.9:
	s_bitcmp1_b32 s10, 0
	s_cselect_b64 vcc, -1, 0
	v_cndmask_b32_e32 v4, v2, v3, vcc
	v_mul_lo_u32 v4, v4, s6
	v_cndmask_b32_e32 v6, v3, v2, vcc
	v_mov_b32_e32 v7, 0
	v_add3_u32 v6, v6, s9, v4
	v_lshlrev_b64 v[6:7], 2, v[6:7]
	v_mov_b32_e32 v4, s15
	v_add_co_u32_e32 v6, vcc, s14, v6
	v_addc_co_u32_e32 v7, vcc, v4, v7, vcc
	global_load_dword v4, v[6:7], off
.LBB4_10:
	s_cmp_eq_u64 s[4:5], 0
	s_cbranch_scc1 .LBB4_12
; %bb.11:
	s_load_dword s6, s[26:27], 0x50
	v_mov_b32_e32 v6, 0
	v_mov_b32_e32 v7, s5
	s_waitcnt lgkmcnt(0)
	s_bitcmp1_b32 s6, 8
	s_cselect_b64 vcc, -1, 0
	v_cndmask_b32_e32 v5, v2, v3, vcc
	v_mul_lo_u32 v5, v5, s7
	v_cndmask_b32_e32 v8, v3, v2, vcc
	v_add3_u32 v5, v8, s9, v5
	v_lshlrev_b64 v[5:6], 2, v[5:6]
	v_add_co_u32_e32 v5, vcc, s4, v5
	v_addc_co_u32_e32 v6, vcc, v7, v6, vcc
	global_load_dword v5, v[5:6], off
.LBB4_12:
	v_mul_lo_u32 v3, v3, s8
	s_waitcnt vmcnt(0)
	v_mul_f32_e32 v5, v1, v5
	v_mov_b32_e32 v1, 0
	v_fmac_f32_e32 v5, v0, v4
	v_add3_u32 v0, v2, s9, v3
	v_lshlrev_b64 v[0:1], 2, v[0:1]
	v_mov_b32_e32 v2, s13
	v_add_co_u32_e32 v0, vcc, s12, v0
	v_addc_co_u32_e32 v1, vcc, v2, v1, vcc
	global_store_dword v[0:1], v5, off
.LBB4_13:
	s_endpgm
	.section	.rodata,"a",@progbits
	.p2align	6, 0x0
	.amdhsa_kernel Transform_S_S_110_16_16_VW_1
		.amdhsa_group_segment_fixed_size 0
		.amdhsa_private_segment_fixed_size 64
		.amdhsa_kernarg_size 344
		.amdhsa_user_sgpr_count 8
		.amdhsa_user_sgpr_private_segment_buffer 1
		.amdhsa_user_sgpr_dispatch_ptr 0
		.amdhsa_user_sgpr_queue_ptr 0
		.amdhsa_user_sgpr_kernarg_segment_ptr 1
		.amdhsa_user_sgpr_dispatch_id 0
		.amdhsa_user_sgpr_flat_scratch_init 1
		.amdhsa_user_sgpr_private_segment_size 0
		.amdhsa_uses_dynamic_stack 0
		.amdhsa_system_sgpr_private_segment_wavefront_offset 1
		.amdhsa_system_sgpr_workgroup_id_x 1
		.amdhsa_system_sgpr_workgroup_id_y 0
		.amdhsa_system_sgpr_workgroup_id_z 1
		.amdhsa_system_sgpr_workgroup_info 0
		.amdhsa_system_vgpr_workitem_id 0
		.amdhsa_next_free_vgpr 42
		.amdhsa_next_free_sgpr 34
		.amdhsa_reserve_vcc 1
		.amdhsa_reserve_flat_scratch 1
		.amdhsa_float_round_mode_32 0
		.amdhsa_float_round_mode_16_64 0
		.amdhsa_float_denorm_mode_32 3
		.amdhsa_float_denorm_mode_16_64 3
		.amdhsa_dx10_clamp 1
		.amdhsa_ieee_mode 1
		.amdhsa_fp16_overflow 0
		.amdhsa_exception_fp_ieee_invalid_op 0
		.amdhsa_exception_fp_denorm_src 0
		.amdhsa_exception_fp_ieee_div_zero 0
		.amdhsa_exception_fp_ieee_overflow 0
		.amdhsa_exception_fp_ieee_underflow 0
		.amdhsa_exception_fp_ieee_inexact 0
		.amdhsa_exception_int_div_zero 0
	.end_amdhsa_kernel
	.text
.Lfunc_end4:
	.size	Transform_S_S_110_16_16_VW_1, .Lfunc_end4-Transform_S_S_110_16_16_VW_1
                                        ; -- End function
	.set Transform_S_S_110_16_16_VW_1.num_vgpr, max(42, .L__assert_fail.num_vgpr)
	.set Transform_S_S_110_16_16_VW_1.num_agpr, max(0, .L__assert_fail.num_agpr)
	.set Transform_S_S_110_16_16_VW_1.numbered_sgpr, max(33, .L__assert_fail.numbered_sgpr)
	.set Transform_S_S_110_16_16_VW_1.num_named_barrier, max(0, .L__assert_fail.num_named_barrier)
	.set Transform_S_S_110_16_16_VW_1.private_seg_size, 0+max(.L__assert_fail.private_seg_size)
	.set Transform_S_S_110_16_16_VW_1.uses_vcc, or(1, .L__assert_fail.uses_vcc)
	.set Transform_S_S_110_16_16_VW_1.uses_flat_scratch, or(1, .L__assert_fail.uses_flat_scratch)
	.set Transform_S_S_110_16_16_VW_1.has_dyn_sized_stack, or(0, .L__assert_fail.has_dyn_sized_stack)
	.set Transform_S_S_110_16_16_VW_1.has_recursion, or(0, .L__assert_fail.has_recursion)
	.set Transform_S_S_110_16_16_VW_1.has_indirect_call, or(0, .L__assert_fail.has_indirect_call)
	.section	.AMDGPU.csdata,"",@progbits
; Kernel info:
; codeLenInByte = 660
; TotalNumSgprs: 40
; NumVgprs: 42
; ScratchSize: 64
; MemoryBound: 0
; FloatMode: 240
; IeeeMode: 1
; LDSByteSize: 0 bytes/workgroup (compile time only)
; SGPRBlocks: 4
; VGPRBlocks: 10
; NumSGPRsForWavesPerEU: 40
; NumVGPRsForWavesPerEU: 42
; Occupancy: 5
; WaveLimiterHint : 1
; COMPUTE_PGM_RSRC2:SCRATCH_EN: 1
; COMPUTE_PGM_RSRC2:USER_SGPR: 8
; COMPUTE_PGM_RSRC2:TRAP_HANDLER: 0
; COMPUTE_PGM_RSRC2:TGID_X_EN: 1
; COMPUTE_PGM_RSRC2:TGID_Y_EN: 0
; COMPUTE_PGM_RSRC2:TGID_Z_EN: 1
; COMPUTE_PGM_RSRC2:TIDIG_COMP_CNT: 0
	.text
	.protected	Transform_S_S_110_16_16_VW_4 ; -- Begin function Transform_S_S_110_16_16_VW_4
	.globl	Transform_S_S_110_16_16_VW_4
	.p2align	8
	.type	Transform_S_S_110_16_16_VW_4,@function
Transform_S_S_110_16_16_VW_4:           ; @Transform_S_S_110_16_16_VW_4
; %bb.0:
	s_mov_b64 s[26:27], s[4:5]
	s_load_dword s4, s[6:7], 0x64
	s_add_u32 flat_scratch_lo, s8, s12
	s_addc_u32 flat_scratch_hi, s9, 0
	s_add_u32 s0, s0, s12
	s_addc_u32 s1, s1, 0
	s_waitcnt lgkmcnt(0)
	s_and_b32 s4, s4, 0xffff
	s_mov_b32 s35, s11
	s_mov_b32 s34, s10
	s_mov_b64 s[28:29], s[6:7]
	v_mov_b32_e32 v41, v2
	v_mov_b32_e32 v43, v1
	;; [unrolled: 1-line block ×3, first 2 shown]
	s_cmpk_eq_i32 s4, 0x100
	s_mov_b64 s[4:5], -1
	s_mov_b32 s32, 0
	s_cbranch_scc1 .LBB5_2
; %bb.1:
	s_add_u32 s8, s28, 0x58
	s_addc_u32 s9, s29, 0
	s_getpc_b64 s[4:5]
	s_add_u32 s4, s4, __PRETTY_FUNCTION__._ZN10amd_detail9transformIffLb1ELb1ELb0ELj16ELj16ELj4EEEvPT_PKS1_S4_T0_PKS5_S5_S7_jjjjjjbb@rel32@lo+4
	s_addc_u32 s5, s5, __PRETTY_FUNCTION__._ZN10amd_detail9transformIffLb1ELb1ELb0ELj16ELj16ELj4EEEvPT_PKS1_S4_T0_PKS5_S5_S7_jjjjjjbb@rel32@hi+12
	s_getpc_b64 s[6:7]
	s_add_u32 s6, s6, __assert_fail@rel32@lo+4
	s_addc_u32 s7, s7, __assert_fail@rel32@hi+12
	v_mov_b32_e32 v0, s4
	v_mov_b32_e32 v1, s5
	s_swappc_b64 s[30:31], s[6:7]
	s_mov_b64 s[4:5], 0
	; divergent unreachable
.LBB5_2:
	s_andn2_b64 vcc, exec, s[4:5]
	s_cbranch_vccnz .LBB5_54
; %bb.3:
	s_load_dwordx8 s[12:19], s[28:29], 0x38
	s_waitcnt lgkmcnt(0)
	s_lshr_b32 s6, s12, 6
	s_and_b32 s4, s12, 63
	s_cmp_lg_u32 s4, 0
	s_cselect_b64 s[4:5], -1, 0
	s_cmp_lg_u64 s[4:5], 0
	s_addc_u32 s6, s6, 0
	v_cvt_f32_u32_e32 v0, s6
	s_load_dword s8, s[28:29], 0x18
	s_load_dwordx2 s[4:5], s[28:29], 0x20
	s_sub_i32 s7, 0, s6
	v_rcp_iflag_f32_e32 v0, v0
	s_waitcnt lgkmcnt(0)
	v_mov_b32_e32 v8, s8
	v_mul_f32_e32 v0, 0x4f7ffffe, v0
	v_cvt_u32_f32_e32 v0, v0
	v_readfirstlane_b32 s9, v0
	s_mul_i32 s7, s7, s9
	s_mul_hi_u32 s7, s9, s7
	s_add_i32 s9, s9, s7
	s_mul_hi_u32 s7, s34, s9
	s_cmp_eq_u64 s[4:5], 0
	s_cbranch_scc1 .LBB5_5
; %bb.4:
	v_mov_b32_e32 v0, 0
	global_load_dword v8, v0, s[4:5]
.LBB5_5:
	s_load_dwordx2 s[4:5], s[28:29], 0x30
	s_load_dword s8, s[28:29], 0x28
	s_waitcnt lgkmcnt(0)
	s_cmp_eq_u64 s[4:5], 0
	v_mov_b32_e32 v12, s8
	s_cbranch_scc1 .LBB5_7
; %bb.6:
	v_mov_b32_e32 v0, 0
	global_load_dword v12, v0, s[4:5]
.LBB5_7:
	s_mul_i32 s4, s7, s6
	s_sub_i32 s4, s34, s4
	s_add_i32 s5, s7, 1
	s_sub_i32 s8, s4, s6
	s_cmp_ge_u32 s4, s6
	s_cselect_b32 s5, s5, s7
	s_cselect_b32 s4, s8, s4
	s_add_i32 s7, s5, 1
	s_cmp_ge_u32 s4, s6
	s_cselect_b32 s4, s7, s5
	v_lshrrev_b32_e32 v0, 4, v42
	v_lshl_add_u32 v4, s4, 4, v0
	v_cmp_gt_u32_e32 vcc, s13, v4
	s_and_saveexec_b64 s[8:9], vcc
	s_cbranch_execz .LBB5_54
; %bb.8:
	s_mul_i32 s13, s4, s6
	v_lshlrev_b32_e32 v0, 2, v42
	s_sub_i32 s4, s34, s13
	v_and_b32_e32 v9, 60, v0
	v_lshl_or_b32 v11, s4, 6, v9
	v_add_u32_e32 v13, 4, v11
	s_load_dwordx4 s[20:23], s[28:29], 0x0
	s_load_dwordx2 s[24:25], s[28:29], 0x10
	v_sub_u32_e64 v10, v13, s12 clamp
	v_sub_u32_e32 v3, v11, v10
	v_mad_u64_u32 v[0:1], s[4:5], v4, s14, v[3:4]
	s_bitcmp1_b32 s18, 0
	s_cselect_b64 vcc, -1, 0
	s_waitcnt lgkmcnt(0)
	s_cmp_lg_u64 s[22:23], 0
	s_mul_i32 s17, s17, s35
	s_cselect_b64 s[10:11], -1, 0
	s_cmp_eq_u64 s[22:23], 0
	v_mov_b32_e32 v15, 0
	v_mov_b32_e32 v14, 0
	s_cbranch_scc1 .LBB5_10
; %bb.9:
	v_mad_u64_u32 v[1:2], s[4:5], v3, s14, v[4:5]
	v_mov_b32_e32 v2, 0
	v_mov_b32_e32 v5, s23
	v_cndmask_b32_e32 v1, v1, v0, vcc
	v_add_u32_e32 v1, s17, v1
	v_lshlrev_b64 v[1:2], 2, v[1:2]
	v_add_co_u32_e64 v1, s[4:5], s22, v1
	v_addc_co_u32_e64 v2, s[4:5], v5, v2, s[4:5]
	global_load_dword v14, v[1:2], off
.LBB5_10:
	s_load_dword s6, s[28:29], 0x50
	s_xor_b64 s[8:9], vcc, -1
	v_mad_u64_u32 v[1:2], s[4:5], v4, s15, v[3:4]
	s_waitcnt lgkmcnt(0)
	s_bitcmp1_b32 s6, 8
	s_cselect_b64 s[6:7], -1, 0
	s_cmp_lg_u64 s[24:25], 0
	s_cselect_b64 s[18:19], -1, 0
	s_cmp_eq_u64 s[24:25], 0
	s_cbranch_scc1 .LBB5_12
; %bb.11:
	v_mad_u64_u32 v[5:6], s[4:5], v3, s15, v[4:5]
	v_mov_b32_e32 v6, 0
	v_mov_b32_e32 v2, s25
	v_cndmask_b32_e64 v5, v5, v1, s[6:7]
	v_add_u32_e32 v5, s17, v5
	v_lshlrev_b64 v[5:6], 2, v[5:6]
	v_add_co_u32_e32 v5, vcc, s24, v5
	v_addc_co_u32_e32 v6, vcc, v2, v6, vcc
	global_load_dword v15, v[5:6], off
.LBB5_12:
	v_cndmask_b32_e64 v2, 0, 1, s[8:9]
	v_cmp_ne_u32_e64 s[4:5], 1, v2
	s_andn2_b64 vcc, exec, s[8:9]
	s_cbranch_vccnz .LBB5_14
; %bb.13:
	v_mul_lo_u32 v2, s14, v3
	v_add3_u32 v2, v2, s14, v4
	s_xor_b64 s[8:9], s[6:7], -1
	s_cbranch_execz .LBB5_15
	s_branch .LBB5_16
.LBB5_14:
                                        ; implicit-def: $vgpr2
	s_xor_b64 s[8:9], s[6:7], -1
.LBB5_15:
	v_add_u32_e32 v2, 1, v0
.LBB5_16:
	v_cndmask_b32_e64 v5, 0, 1, s[8:9]
	v_cmp_ne_u32_e64 s[6:7], 1, v5
	s_andn2_b64 vcc, exec, s[8:9]
	s_cbranch_vccnz .LBB5_18
; %bb.17:
	v_mul_lo_u32 v5, s15, v3
	v_add3_u32 v5, v5, s15, v4
	s_cbranch_execz .LBB5_19
	s_branch .LBB5_20
.LBB5_18:
                                        ; implicit-def: $vgpr5
.LBB5_19:
	v_add_u32_e32 v5, 1, v1
.LBB5_20:
	v_cndmask_b32_e64 v6, 0, 1, s[10:11]
	v_mov_b32_e32 v17, 0
	v_cmp_ne_u32_e64 s[8:9], 1, v6
	s_andn2_b64 vcc, exec, s[10:11]
	v_mov_b32_e32 v16, 0
	s_cbranch_vccnz .LBB5_22
; %bb.21:
	v_add_u32_e32 v6, s17, v2
	v_mov_b32_e32 v7, 0
	v_lshlrev_b64 v[6:7], 2, v[6:7]
	v_mov_b32_e32 v2, s23
	v_add_co_u32_e32 v6, vcc, s22, v6
	v_addc_co_u32_e32 v7, vcc, v2, v7, vcc
	global_load_dword v16, v[6:7], off
.LBB5_22:
	v_cndmask_b32_e64 v2, 0, 1, s[18:19]
	v_cmp_ne_u32_e64 s[10:11], 1, v2
	s_andn2_b64 vcc, exec, s[18:19]
	s_cbranch_vccnz .LBB5_24
; %bb.23:
	v_add_u32_e32 v5, s17, v5
	v_mov_b32_e32 v6, 0
	v_lshlrev_b64 v[5:6], 2, v[5:6]
	v_mov_b32_e32 v2, s25
	v_add_co_u32_e32 v5, vcc, s24, v5
	v_addc_co_u32_e32 v6, vcc, v2, v6, vcc
	global_load_dword v17, v[5:6], off
.LBB5_24:
	s_and_b64 vcc, exec, s[4:5]
	v_add_u32_e32 v2, 2, v3
	s_cbranch_vccnz .LBB5_26
; %bb.25:
	v_mad_u64_u32 v[5:6], s[18:19], v2, s14, v[4:5]
	s_cbranch_execz .LBB5_27
	s_branch .LBB5_28
.LBB5_26:
                                        ; implicit-def: $vgpr5
.LBB5_27:
	v_add_u32_e32 v5, 2, v0
.LBB5_28:
	s_and_b64 vcc, exec, s[6:7]
	s_cbranch_vccnz .LBB5_30
; %bb.29:
	v_mad_u64_u32 v[6:7], s[18:19], v2, s15, v[4:5]
	s_cbranch_execz .LBB5_31
	s_branch .LBB5_32
.LBB5_30:
                                        ; implicit-def: $vgpr6
.LBB5_31:
	v_add_u32_e32 v6, 2, v1
.LBB5_32:
	v_mov_b32_e32 v18, 0
	s_and_b64 vcc, exec, s[8:9]
	v_mov_b32_e32 v7, 0
	s_cbranch_vccnz .LBB5_34
; %bb.33:
	v_add_u32_e32 v19, s17, v5
	v_mov_b32_e32 v20, 0
	v_lshlrev_b64 v[19:20], 2, v[19:20]
	v_mov_b32_e32 v2, s23
	v_add_co_u32_e32 v19, vcc, s22, v19
	v_addc_co_u32_e32 v20, vcc, v2, v20, vcc
	global_load_dword v7, v[19:20], off
.LBB5_34:
	s_and_b64 vcc, exec, s[10:11]
	s_cbranch_vccnz .LBB5_36
; %bb.35:
	v_add_u32_e32 v5, s17, v6
	v_mov_b32_e32 v6, 0
	v_lshlrev_b64 v[5:6], 2, v[5:6]
	v_mov_b32_e32 v2, s25
	v_add_co_u32_e32 v5, vcc, s24, v5
	v_addc_co_u32_e32 v6, vcc, v2, v6, vcc
	global_load_dword v18, v[5:6], off
.LBB5_36:
	s_and_b64 vcc, exec, s[4:5]
	v_add_u32_e32 v5, 3, v3
	s_cbranch_vccnz .LBB5_38
; %bb.37:
	v_mad_u64_u32 v[2:3], s[4:5], v5, s14, v[4:5]
	s_cbranch_execz .LBB5_39
	s_branch .LBB5_40
.LBB5_38:
                                        ; implicit-def: $vgpr2
.LBB5_39:
	v_add_u32_e32 v2, 3, v0
.LBB5_40:
	s_and_b64 vcc, exec, s[6:7]
	s_cbranch_vccnz .LBB5_42
; %bb.41:
	v_mad_u64_u32 v[5:6], s[4:5], v5, s15, v[4:5]
	s_cbranch_execz .LBB5_43
	s_branch .LBB5_44
.LBB5_42:
                                        ; implicit-def: $vgpr5
.LBB5_43:
	v_add_u32_e32 v5, 3, v1
.LBB5_44:
	v_mov_b32_e32 v3, 0
	s_and_b64 vcc, exec, s[8:9]
	v_mov_b32_e32 v6, 0
	s_cbranch_vccnz .LBB5_46
; %bb.45:
	v_add_u32_e32 v0, s17, v2
	v_mov_b32_e32 v1, 0
	v_lshlrev_b64 v[0:1], 2, v[0:1]
	v_mov_b32_e32 v2, s23
	v_add_co_u32_e32 v0, vcc, s22, v0
	v_addc_co_u32_e32 v1, vcc, v2, v1, vcc
	global_load_dword v6, v[0:1], off
.LBB5_46:
	s_and_b64 vcc, exec, s[10:11]
	s_cbranch_vccnz .LBB5_48
; %bb.47:
	v_add_u32_e32 v0, s17, v5
	v_mov_b32_e32 v1, 0
	v_lshlrev_b64 v[0:1], 2, v[0:1]
	v_mov_b32_e32 v2, s25
	v_add_co_u32_e32 v0, vcc, s24, v0
	v_addc_co_u32_e32 v1, vcc, v2, v1, vcc
	global_load_dword v3, v[0:1], off
.LBB5_48:
	s_load_dwordx2 s[4:5], s[26:27], 0x4
	v_mul_lo_u32 v4, v4, s16
	s_waitcnt vmcnt(0)
	v_mul_f32_e32 v2, v12, v18
	v_mul_f32_e32 v0, v12, v15
	v_mul_f32_e32 v1, v12, v17
	s_waitcnt lgkmcnt(0)
	s_lshr_b32 s4, s4, 16
	s_mul_i32 s4, s4, s5
	v_mul_lo_u32 v5, s4, v42
	v_mul_f32_e32 v3, v12, v3
	v_fmac_f32_e32 v2, v8, v7
	v_fmac_f32_e32 v0, v8, v14
	v_mad_u32_u24 v7, v43, s5, v5
	v_fmac_f32_e32 v1, v8, v16
	v_add_lshl_u32 v7, v7, v41, 4
	v_fmac_f32_e32 v3, v8, v6
	v_cmp_ge_u32_e32 vcc, s12, v13
	ds_write_b128 v7, v[0:3]
	s_and_saveexec_b64 s[6:7], vcc
	s_xor_b64 s[6:7], exec, s[6:7]
	s_cbranch_execz .LBB5_50
; %bb.49:
	v_add_u32_e32 v5, s17, v11
	v_sub_u32_e32 v5, v5, v10
	v_add_u32_e32 v4, v5, v4
	v_mov_b32_e32 v5, 0
	v_lshlrev_b64 v[6:7], 2, v[4:5]
	v_mov_b32_e32 v8, s21
	v_add_co_u32_e32 v6, vcc, s20, v6
	v_addc_co_u32_e32 v7, vcc, v8, v7, vcc
	global_store_dword v[6:7], v0, off
	v_add_u32_e32 v6, 1, v4
	v_mov_b32_e32 v7, v5
	v_lshlrev_b64 v[6:7], 2, v[6:7]
	v_mov_b32_e32 v0, s21
	v_add_co_u32_e32 v6, vcc, s20, v6
	v_addc_co_u32_e32 v7, vcc, v0, v7, vcc
	global_store_dword v[6:7], v1, off
	v_add_u32_e32 v0, 2, v4
	v_mov_b32_e32 v1, v5
	v_lshlrev_b64 v[0:1], 2, v[0:1]
	v_mov_b32_e32 v6, s21
	v_add_co_u32_e32 v0, vcc, s20, v0
	v_addc_co_u32_e32 v1, vcc, v6, v1, vcc
	v_add_u32_e32 v4, 3, v4
	global_store_dword v[0:1], v2, off
	v_lshlrev_b64 v[0:1], 2, v[4:5]
	v_mov_b32_e32 v2, s21
	v_add_co_u32_e32 v0, vcc, s20, v0
	v_addc_co_u32_e32 v1, vcc, v2, v1, vcc
	global_store_dword v[0:1], v3, off
                                        ; implicit-def: $vgpr10
                                        ; implicit-def: $vgpr43
                                        ; implicit-def: $vgpr9
                                        ; implicit-def: $vgpr4
                                        ; implicit-def: $vgpr41
                                        ; implicit-def: $vgpr5
                                        ; implicit-def: $vgpr42
.LBB5_50:
	s_andn2_saveexec_b64 s[6:7], s[6:7]
	s_cbranch_execz .LBB5_54
; %bb.51:
	v_cmp_gt_u32_e32 vcc, 4, v10
	s_and_b64 exec, exec, vcc
	s_cbranch_execz .LBB5_54
; %bb.52:
	v_mul_u32_u24_e32 v1, s5, v43
	v_lshl_or_b32 v0, s34, 6, v9
	s_lshl_b32 s4, s13, 6
	v_subrev_u32_e32 v2, s4, v0
	v_add3_u32 v0, s17, v4, v0
	v_add3_u32 v1, v1, v41, v5
	v_and_b32_e32 v4, 15, v42
	v_add_u32_e32 v3, 4, v2
	v_add_lshl_u32 v1, v1, v4, 4
	v_min_u32_e32 v3, s12, v3
	v_subrev_u32_e32 v0, s4, v0
	v_lshl_add_u32 v1, s34, 8, v1
	s_lshl_b32 s4, s13, 8
	v_sub_u32_e32 v2, v2, v3
	v_subrev_u32_e32 v1, s4, v1
	v_lshlrev_b32_e32 v3, 2, v3
	v_sub_u32_e32 v1, v1, v3
	v_add_u32_e32 v2, 3, v2
	v_add_u32_e32 v3, 16, v1
	s_mov_b64 s[6:7], 0
	v_mov_b32_e32 v1, 0
	v_mov_b32_e32 v4, s21
.LBB5_53:                               ; =>This Inner Loop Header: Depth=1
	ds_read_b32 v7, v3
	v_lshlrev_b64 v[5:6], 2, v[0:1]
	v_add_u32_e32 v2, 1, v2
	v_cmp_lt_u32_e32 vcc, 2, v2
	v_add_co_u32_e64 v5, s[4:5], s20, v5
	v_add_u32_e32 v0, 1, v0
	v_add_u32_e32 v3, 4, v3
	v_addc_co_u32_e64 v6, s[4:5], v4, v6, s[4:5]
	s_or_b64 s[6:7], vcc, s[6:7]
	s_waitcnt lgkmcnt(0)
	global_store_dword v[5:6], v7, off
	s_andn2_b64 exec, exec, s[6:7]
	s_cbranch_execnz .LBB5_53
.LBB5_54:
	s_endpgm
	.section	.rodata,"a",@progbits
	.p2align	6, 0x0
	.amdhsa_kernel Transform_S_S_110_16_16_VW_4
		.amdhsa_group_segment_fixed_size 16384
		.amdhsa_private_segment_fixed_size 64
		.amdhsa_kernarg_size 344
		.amdhsa_user_sgpr_count 10
		.amdhsa_user_sgpr_private_segment_buffer 1
		.amdhsa_user_sgpr_dispatch_ptr 1
		.amdhsa_user_sgpr_queue_ptr 0
		.amdhsa_user_sgpr_kernarg_segment_ptr 1
		.amdhsa_user_sgpr_dispatch_id 0
		.amdhsa_user_sgpr_flat_scratch_init 1
		.amdhsa_user_sgpr_private_segment_size 0
		.amdhsa_uses_dynamic_stack 0
		.amdhsa_system_sgpr_private_segment_wavefront_offset 1
		.amdhsa_system_sgpr_workgroup_id_x 1
		.amdhsa_system_sgpr_workgroup_id_y 0
		.amdhsa_system_sgpr_workgroup_id_z 1
		.amdhsa_system_sgpr_workgroup_info 0
		.amdhsa_system_vgpr_workitem_id 2
		.amdhsa_next_free_vgpr 44
		.amdhsa_next_free_sgpr 36
		.amdhsa_reserve_vcc 1
		.amdhsa_reserve_flat_scratch 1
		.amdhsa_float_round_mode_32 0
		.amdhsa_float_round_mode_16_64 0
		.amdhsa_float_denorm_mode_32 3
		.amdhsa_float_denorm_mode_16_64 3
		.amdhsa_dx10_clamp 1
		.amdhsa_ieee_mode 1
		.amdhsa_fp16_overflow 0
		.amdhsa_exception_fp_ieee_invalid_op 0
		.amdhsa_exception_fp_denorm_src 0
		.amdhsa_exception_fp_ieee_div_zero 0
		.amdhsa_exception_fp_ieee_overflow 0
		.amdhsa_exception_fp_ieee_underflow 0
		.amdhsa_exception_fp_ieee_inexact 0
		.amdhsa_exception_int_div_zero 0
	.end_amdhsa_kernel
	.text
.Lfunc_end5:
	.size	Transform_S_S_110_16_16_VW_4, .Lfunc_end5-Transform_S_S_110_16_16_VW_4
                                        ; -- End function
	.set Transform_S_S_110_16_16_VW_4.num_vgpr, max(44, .L__assert_fail.num_vgpr)
	.set Transform_S_S_110_16_16_VW_4.num_agpr, max(0, .L__assert_fail.num_agpr)
	.set Transform_S_S_110_16_16_VW_4.numbered_sgpr, max(36, .L__assert_fail.numbered_sgpr)
	.set Transform_S_S_110_16_16_VW_4.num_named_barrier, max(0, .L__assert_fail.num_named_barrier)
	.set Transform_S_S_110_16_16_VW_4.private_seg_size, 0+max(.L__assert_fail.private_seg_size)
	.set Transform_S_S_110_16_16_VW_4.uses_vcc, or(1, .L__assert_fail.uses_vcc)
	.set Transform_S_S_110_16_16_VW_4.uses_flat_scratch, or(1, .L__assert_fail.uses_flat_scratch)
	.set Transform_S_S_110_16_16_VW_4.has_dyn_sized_stack, or(0, .L__assert_fail.has_dyn_sized_stack)
	.set Transform_S_S_110_16_16_VW_4.has_recursion, or(0, .L__assert_fail.has_recursion)
	.set Transform_S_S_110_16_16_VW_4.has_indirect_call, or(0, .L__assert_fail.has_indirect_call)
	.section	.AMDGPU.csdata,"",@progbits
; Kernel info:
; codeLenInByte = 1664
; TotalNumSgprs: 42
; NumVgprs: 44
; ScratchSize: 64
; MemoryBound: 0
; FloatMode: 240
; IeeeMode: 1
; LDSByteSize: 16384 bytes/workgroup (compile time only)
; SGPRBlocks: 5
; VGPRBlocks: 10
; NumSGPRsForWavesPerEU: 42
; NumVGPRsForWavesPerEU: 44
; Occupancy: 5
; WaveLimiterHint : 1
; COMPUTE_PGM_RSRC2:SCRATCH_EN: 1
; COMPUTE_PGM_RSRC2:USER_SGPR: 10
; COMPUTE_PGM_RSRC2:TRAP_HANDLER: 0
; COMPUTE_PGM_RSRC2:TGID_X_EN: 1
; COMPUTE_PGM_RSRC2:TGID_Y_EN: 0
; COMPUTE_PGM_RSRC2:TGID_Z_EN: 1
; COMPUTE_PGM_RSRC2:TIDIG_COMP_CNT: 2
	.text
	.protected	Transform_S_S_101_16_16_VW_1 ; -- Begin function Transform_S_S_101_16_16_VW_1
	.globl	Transform_S_S_101_16_16_VW_1
	.p2align	8
	.type	Transform_S_S_101_16_16_VW_1,@function
Transform_S_S_101_16_16_VW_1:           ; @Transform_S_S_101_16_16_VW_1
; %bb.0:
	s_mov_b64 s[26:27], s[4:5]
	s_load_dword s4, s[4:5], 0x64
	s_add_u32 flat_scratch_lo, s6, s10
	s_addc_u32 flat_scratch_hi, s7, 0
	s_add_u32 s0, s0, s10
	s_addc_u32 s1, s1, 0
	s_waitcnt lgkmcnt(0)
	s_and_b32 s4, s4, 0xffff
	s_mov_b32 s28, s9
	s_mov_b32 s29, s8
	v_mov_b32_e32 v41, v0
	s_cmpk_eq_i32 s4, 0x100
	s_mov_b64 s[4:5], -1
	s_mov_b32 s32, 0
	s_cbranch_scc1 .LBB6_2
; %bb.1:
	s_add_u32 s8, s26, 0x58
	s_addc_u32 s9, s27, 0
	s_getpc_b64 s[4:5]
	s_add_u32 s4, s4, __PRETTY_FUNCTION__._ZN10amd_detail9transformIffLb1ELb0ELb1ELj16ELj16ELj1EEEvPT_PKS1_S4_T0_PKS5_S5_S7_jjjjjjbb@rel32@lo+4
	s_addc_u32 s5, s5, __PRETTY_FUNCTION__._ZN10amd_detail9transformIffLb1ELb0ELb1ELj16ELj16ELj1EEEvPT_PKS1_S4_T0_PKS5_S5_S7_jjjjjjbb@rel32@hi+12
	s_getpc_b64 s[6:7]
	s_add_u32 s6, s6, __assert_fail@rel32@lo+4
	s_addc_u32 s7, s7, __assert_fail@rel32@hi+12
	v_mov_b32_e32 v0, s4
	v_mov_b32_e32 v1, s5
	s_swappc_b64 s[30:31], s[6:7]
	s_mov_b64 s[4:5], 0
	; divergent unreachable
.LBB6_2:
	s_andn2_b64 vcc, exec, s[4:5]
	s_cbranch_vccnz .LBB6_13
; %bb.3:
	s_load_dwordx8 s[4:11], s[26:27], 0x38
	s_waitcnt lgkmcnt(0)
	s_lshr_b32 s11, s4, 4
	s_and_b32 s12, s4, 15
	s_cmp_lg_u32 s12, 0
	s_cselect_b64 s[12:13], -1, 0
	s_cmp_lg_u64 s[12:13], 0
	s_addc_u32 s11, s11, 0
	v_cvt_f32_u32_e32 v0, s11
	s_load_dword s15, s[26:27], 0x18
	s_load_dwordx2 s[12:13], s[26:27], 0x20
	s_sub_i32 s14, 0, s11
	v_rcp_iflag_f32_e32 v0, v0
	v_mul_f32_e32 v0, 0x4f7ffffe, v0
	v_cvt_u32_f32_e32 v0, v0
	v_readfirstlane_b32 s16, v0
	s_mul_i32 s14, s14, s16
	s_mul_hi_u32 s14, s16, s14
	s_add_i32 s16, s16, s14
	s_mul_hi_u32 s14, s29, s16
	s_waitcnt lgkmcnt(0)
	s_cmp_eq_u64 s[12:13], 0
	v_mov_b32_e32 v0, s15
	s_cbranch_scc1 .LBB6_5
; %bb.4:
	v_mov_b32_e32 v0, 0
	global_load_dword v0, v0, s[12:13]
.LBB6_5:
	s_load_dwordx2 s[12:13], s[26:27], 0x30
	s_load_dword s15, s[26:27], 0x28
	s_waitcnt lgkmcnt(0)
	s_cmp_eq_u64 s[12:13], 0
	v_mov_b32_e32 v1, s15
	s_cbranch_scc1 .LBB6_7
; %bb.6:
	v_mov_b32_e32 v1, 0
	global_load_dword v1, v1, s[12:13]
.LBB6_7:
	s_mul_i32 s12, s14, s11
	s_sub_i32 s12, s29, s12
	s_add_i32 s13, s14, 1
	s_sub_i32 s15, s12, s11
	s_cmp_ge_u32 s12, s11
	s_cselect_b32 s13, s13, s14
	s_cselect_b32 s12, s15, s12
	s_add_i32 s14, s13, 1
	s_cmp_ge_u32 s12, s11
	s_cselect_b32 s12, s14, s13
	s_mul_i32 s11, s12, s11
	s_sub_i32 s11, s29, s11
	v_and_b32_e32 v2, 15, v41
	v_lshrrev_b32_e32 v4, 4, v41
	v_lshl_or_b32 v3, s11, 4, v2
	v_lshl_add_u32 v2, s12, 4, v4
	v_cmp_gt_u32_e32 vcc, s4, v3
	v_cmp_gt_u32_e64 s[4:5], s5, v2
	s_and_b64 s[4:5], vcc, s[4:5]
	s_and_saveexec_b64 s[12:13], s[4:5]
	s_cbranch_execz .LBB6_13
; %bb.8:
	s_load_dwordx4 s[12:15], s[26:27], 0x0
	s_load_dwordx2 s[4:5], s[26:27], 0x10
	s_mul_i32 s9, s9, s28
	v_mov_b32_e32 v5, 0
	v_mov_b32_e32 v4, 0
	s_waitcnt lgkmcnt(0)
	s_cmp_eq_u64 s[14:15], 0
	s_cbranch_scc1 .LBB6_10
; %bb.9:
	s_bitcmp1_b32 s10, 0
	s_cselect_b64 vcc, -1, 0
	v_cndmask_b32_e32 v4, v3, v2, vcc
	v_mul_lo_u32 v4, v4, s6
	v_cndmask_b32_e32 v6, v2, v3, vcc
	v_mov_b32_e32 v7, 0
	v_add3_u32 v6, v6, s9, v4
	v_lshlrev_b64 v[6:7], 2, v[6:7]
	v_mov_b32_e32 v4, s15
	v_add_co_u32_e32 v6, vcc, s14, v6
	v_addc_co_u32_e32 v7, vcc, v4, v7, vcc
	global_load_dword v4, v[6:7], off
.LBB6_10:
	s_cmp_eq_u64 s[4:5], 0
	s_cbranch_scc1 .LBB6_12
; %bb.11:
	s_load_dword s6, s[26:27], 0x50
	v_mov_b32_e32 v6, 0
	v_mov_b32_e32 v7, s5
	s_waitcnt lgkmcnt(0)
	s_bitcmp1_b32 s6, 8
	s_cselect_b64 vcc, -1, 0
	v_cndmask_b32_e32 v5, v2, v3, vcc
	v_mul_lo_u32 v5, v5, s7
	v_cndmask_b32_e32 v8, v3, v2, vcc
	v_add3_u32 v5, v8, s9, v5
	v_lshlrev_b64 v[5:6], 2, v[5:6]
	v_add_co_u32_e32 v5, vcc, s4, v5
	v_addc_co_u32_e32 v6, vcc, v7, v6, vcc
	global_load_dword v5, v[5:6], off
.LBB6_12:
	v_mul_lo_u32 v3, v3, s8
	s_waitcnt vmcnt(0)
	v_mul_f32_e32 v5, v1, v5
	v_mov_b32_e32 v1, 0
	v_fmac_f32_e32 v5, v0, v4
	v_add3_u32 v0, v2, s9, v3
	v_lshlrev_b64 v[0:1], 2, v[0:1]
	v_mov_b32_e32 v2, s13
	v_add_co_u32_e32 v0, vcc, s12, v0
	v_addc_co_u32_e32 v1, vcc, v2, v1, vcc
	global_store_dword v[0:1], v5, off
.LBB6_13:
	s_endpgm
	.section	.rodata,"a",@progbits
	.p2align	6, 0x0
	.amdhsa_kernel Transform_S_S_101_16_16_VW_1
		.amdhsa_group_segment_fixed_size 0
		.amdhsa_private_segment_fixed_size 64
		.amdhsa_kernarg_size 344
		.amdhsa_user_sgpr_count 8
		.amdhsa_user_sgpr_private_segment_buffer 1
		.amdhsa_user_sgpr_dispatch_ptr 0
		.amdhsa_user_sgpr_queue_ptr 0
		.amdhsa_user_sgpr_kernarg_segment_ptr 1
		.amdhsa_user_sgpr_dispatch_id 0
		.amdhsa_user_sgpr_flat_scratch_init 1
		.amdhsa_user_sgpr_private_segment_size 0
		.amdhsa_uses_dynamic_stack 0
		.amdhsa_system_sgpr_private_segment_wavefront_offset 1
		.amdhsa_system_sgpr_workgroup_id_x 1
		.amdhsa_system_sgpr_workgroup_id_y 0
		.amdhsa_system_sgpr_workgroup_id_z 1
		.amdhsa_system_sgpr_workgroup_info 0
		.amdhsa_system_vgpr_workitem_id 0
		.amdhsa_next_free_vgpr 42
		.amdhsa_next_free_sgpr 34
		.amdhsa_reserve_vcc 1
		.amdhsa_reserve_flat_scratch 1
		.amdhsa_float_round_mode_32 0
		.amdhsa_float_round_mode_16_64 0
		.amdhsa_float_denorm_mode_32 3
		.amdhsa_float_denorm_mode_16_64 3
		.amdhsa_dx10_clamp 1
		.amdhsa_ieee_mode 1
		.amdhsa_fp16_overflow 0
		.amdhsa_exception_fp_ieee_invalid_op 0
		.amdhsa_exception_fp_denorm_src 0
		.amdhsa_exception_fp_ieee_div_zero 0
		.amdhsa_exception_fp_ieee_overflow 0
		.amdhsa_exception_fp_ieee_underflow 0
		.amdhsa_exception_fp_ieee_inexact 0
		.amdhsa_exception_int_div_zero 0
	.end_amdhsa_kernel
	.text
.Lfunc_end6:
	.size	Transform_S_S_101_16_16_VW_1, .Lfunc_end6-Transform_S_S_101_16_16_VW_1
                                        ; -- End function
	.set Transform_S_S_101_16_16_VW_1.num_vgpr, max(42, .L__assert_fail.num_vgpr)
	.set Transform_S_S_101_16_16_VW_1.num_agpr, max(0, .L__assert_fail.num_agpr)
	.set Transform_S_S_101_16_16_VW_1.numbered_sgpr, max(33, .L__assert_fail.numbered_sgpr)
	.set Transform_S_S_101_16_16_VW_1.num_named_barrier, max(0, .L__assert_fail.num_named_barrier)
	.set Transform_S_S_101_16_16_VW_1.private_seg_size, 0+max(.L__assert_fail.private_seg_size)
	.set Transform_S_S_101_16_16_VW_1.uses_vcc, or(1, .L__assert_fail.uses_vcc)
	.set Transform_S_S_101_16_16_VW_1.uses_flat_scratch, or(1, .L__assert_fail.uses_flat_scratch)
	.set Transform_S_S_101_16_16_VW_1.has_dyn_sized_stack, or(0, .L__assert_fail.has_dyn_sized_stack)
	.set Transform_S_S_101_16_16_VW_1.has_recursion, or(0, .L__assert_fail.has_recursion)
	.set Transform_S_S_101_16_16_VW_1.has_indirect_call, or(0, .L__assert_fail.has_indirect_call)
	.section	.AMDGPU.csdata,"",@progbits
; Kernel info:
; codeLenInByte = 660
; TotalNumSgprs: 40
; NumVgprs: 42
; ScratchSize: 64
; MemoryBound: 0
; FloatMode: 240
; IeeeMode: 1
; LDSByteSize: 0 bytes/workgroup (compile time only)
; SGPRBlocks: 4
; VGPRBlocks: 10
; NumSGPRsForWavesPerEU: 40
; NumVGPRsForWavesPerEU: 42
; Occupancy: 5
; WaveLimiterHint : 1
; COMPUTE_PGM_RSRC2:SCRATCH_EN: 1
; COMPUTE_PGM_RSRC2:USER_SGPR: 8
; COMPUTE_PGM_RSRC2:TRAP_HANDLER: 0
; COMPUTE_PGM_RSRC2:TGID_X_EN: 1
; COMPUTE_PGM_RSRC2:TGID_Y_EN: 0
; COMPUTE_PGM_RSRC2:TGID_Z_EN: 1
; COMPUTE_PGM_RSRC2:TIDIG_COMP_CNT: 0
	.text
	.protected	Transform_S_S_101_16_16_VW_4 ; -- Begin function Transform_S_S_101_16_16_VW_4
	.globl	Transform_S_S_101_16_16_VW_4
	.p2align	8
	.type	Transform_S_S_101_16_16_VW_4,@function
Transform_S_S_101_16_16_VW_4:           ; @Transform_S_S_101_16_16_VW_4
; %bb.0:
	s_mov_b64 s[26:27], s[4:5]
	s_load_dword s4, s[6:7], 0x64
	s_add_u32 flat_scratch_lo, s8, s12
	s_addc_u32 flat_scratch_hi, s9, 0
	s_add_u32 s0, s0, s12
	s_addc_u32 s1, s1, 0
	s_waitcnt lgkmcnt(0)
	s_and_b32 s4, s4, 0xffff
	s_mov_b32 s35, s11
	s_mov_b32 s34, s10
	s_mov_b64 s[28:29], s[6:7]
	v_mov_b32_e32 v41, v2
	v_mov_b32_e32 v43, v1
	;; [unrolled: 1-line block ×3, first 2 shown]
	s_cmpk_eq_i32 s4, 0x100
	s_mov_b64 s[4:5], -1
	s_mov_b32 s32, 0
	s_cbranch_scc1 .LBB7_2
; %bb.1:
	s_add_u32 s8, s28, 0x58
	s_addc_u32 s9, s29, 0
	s_getpc_b64 s[4:5]
	s_add_u32 s4, s4, __PRETTY_FUNCTION__._ZN10amd_detail9transformIffLb1ELb0ELb1ELj16ELj16ELj4EEEvPT_PKS1_S4_T0_PKS5_S5_S7_jjjjjjbb@rel32@lo+4
	s_addc_u32 s5, s5, __PRETTY_FUNCTION__._ZN10amd_detail9transformIffLb1ELb0ELb1ELj16ELj16ELj4EEEvPT_PKS1_S4_T0_PKS5_S5_S7_jjjjjjbb@rel32@hi+12
	s_getpc_b64 s[6:7]
	s_add_u32 s6, s6, __assert_fail@rel32@lo+4
	s_addc_u32 s7, s7, __assert_fail@rel32@hi+12
	v_mov_b32_e32 v0, s4
	v_mov_b32_e32 v1, s5
	s_swappc_b64 s[30:31], s[6:7]
	s_mov_b64 s[4:5], 0
	; divergent unreachable
.LBB7_2:
	s_andn2_b64 vcc, exec, s[4:5]
	s_cbranch_vccnz .LBB7_54
; %bb.3:
	s_load_dwordx4 s[12:15], s[28:29], 0x38
	s_waitcnt lgkmcnt(0)
	s_lshr_b32 s6, s12, 4
	s_and_b32 s4, s12, 15
	s_cmp_lg_u32 s4, 0
	s_cselect_b64 s[4:5], -1, 0
	s_cmp_lg_u64 s[4:5], 0
	s_addc_u32 s6, s6, 0
	v_cvt_f32_u32_e32 v0, s6
	s_load_dword s8, s[28:29], 0x18
	s_load_dwordx2 s[4:5], s[28:29], 0x20
	s_sub_i32 s7, 0, s6
	v_rcp_iflag_f32_e32 v0, v0
	s_waitcnt lgkmcnt(0)
	v_mov_b32_e32 v13, s8
	v_mul_f32_e32 v0, 0x4f7ffffe, v0
	v_cvt_u32_f32_e32 v0, v0
	v_readfirstlane_b32 s9, v0
	s_mul_i32 s7, s7, s9
	s_mul_hi_u32 s7, s9, s7
	s_add_i32 s9, s9, s7
	s_mul_hi_u32 s7, s34, s9
	s_cmp_eq_u64 s[4:5], 0
	s_cbranch_scc1 .LBB7_5
; %bb.4:
	v_mov_b32_e32 v0, 0
	global_load_dword v13, v0, s[4:5]
.LBB7_5:
	s_load_dwordx2 s[4:5], s[28:29], 0x30
	s_load_dword s8, s[28:29], 0x28
	s_waitcnt lgkmcnt(0)
	s_cmp_eq_u64 s[4:5], 0
	v_mov_b32_e32 v14, s8
	s_cbranch_scc1 .LBB7_7
; %bb.6:
	v_mov_b32_e32 v0, 0
	global_load_dword v14, v0, s[4:5]
.LBB7_7:
	s_mul_i32 s4, s7, s6
	s_sub_i32 s4, s34, s4
	s_add_i32 s5, s7, 1
	s_sub_i32 s8, s4, s6
	s_cmp_ge_u32 s4, s6
	s_cselect_b32 s5, s5, s7
	s_cselect_b32 s4, s8, s4
	s_add_i32 s7, s5, 1
	s_cmp_ge_u32 s4, s6
	s_cselect_b32 s30, s7, s5
	s_mul_i32 s31, s30, s6
	s_sub_i32 s4, s34, s31
	v_and_b32_e32 v8, 15, v42
	v_lshl_or_b32 v4, s4, 4, v8
	v_cmp_gt_u32_e32 vcc, s12, v4
	s_and_saveexec_b64 s[4:5], vcc
	s_cbranch_execz .LBB7_54
; %bb.8:
	v_lshrrev_b32_e32 v0, 2, v42
	s_lshl_b32 s12, s30, 6
	v_and_b32_e32 v10, 0xfc, v0
	s_load_dwordx4 s[20:23], s[28:29], 0x48
	v_add_u32_e32 v9, s12, v10
	v_add_u32_e32 v12, 4, v9
	v_sub_u32_e64 v11, v12, s13 clamp
	s_load_dwordx4 s[16:19], s[28:29], 0x0
	s_load_dwordx2 s[24:25], s[28:29], 0x10
	v_sub_u32_e32 v0, v9, v11
	v_mad_u64_u32 v[5:6], s[4:5], v4, s14, v[0:1]
	s_waitcnt lgkmcnt(0)
	s_bitcmp1_b32 s22, 0
	s_cselect_b64 vcc, -1, 0
	s_cmp_lg_u64 s[18:19], 0
	s_mul_i32 s21, s21, s35
	s_cselect_b64 s[10:11], -1, 0
	s_cmp_eq_u64 s[18:19], 0
	v_mov_b32_e32 v16, 0
	v_mov_b32_e32 v15, 0
	s_cbranch_scc1 .LBB7_10
; %bb.9:
	v_mad_u64_u32 v[1:2], s[4:5], v0, s14, v[4:5]
	v_mov_b32_e32 v2, 0
	v_mov_b32_e32 v3, s19
	v_cndmask_b32_e32 v1, v5, v1, vcc
	v_add_u32_e32 v1, s21, v1
	v_lshlrev_b64 v[1:2], 2, v[1:2]
	v_add_co_u32_e64 v1, s[4:5], s18, v1
	v_addc_co_u32_e64 v2, s[4:5], v3, v2, s[4:5]
	global_load_dword v15, v[1:2], off
.LBB7_10:
	s_load_dword s6, s[28:29], 0x50
	s_xor_b64 s[8:9], vcc, -1
	v_mad_u64_u32 v[1:2], s[4:5], v4, s15, v[0:1]
	s_waitcnt lgkmcnt(0)
	s_bitcmp1_b32 s6, 8
	s_cselect_b64 s[6:7], -1, 0
	s_cmp_lg_u64 s[24:25], 0
	s_cselect_b64 s[22:23], -1, 0
	s_cmp_eq_u64 s[24:25], 0
	s_cbranch_scc1 .LBB7_12
; %bb.11:
	v_mad_u64_u32 v[2:3], s[4:5], v0, s15, v[4:5]
	v_mov_b32_e32 v3, 0
	v_mov_b32_e32 v6, s25
	v_cndmask_b32_e64 v2, v2, v1, s[6:7]
	v_add_u32_e32 v2, s21, v2
	v_lshlrev_b64 v[2:3], 2, v[2:3]
	v_add_co_u32_e32 v2, vcc, s24, v2
	v_addc_co_u32_e32 v3, vcc, v6, v3, vcc
	global_load_dword v16, v[2:3], off
.LBB7_12:
	v_cndmask_b32_e64 v2, 0, 1, s[8:9]
	v_cmp_ne_u32_e64 s[4:5], 1, v2
	s_andn2_b64 vcc, exec, s[8:9]
	s_cbranch_vccnz .LBB7_14
; %bb.13:
	v_add_u32_e32 v2, 1, v5
	s_xor_b64 s[8:9], s[6:7], -1
	s_cbranch_execz .LBB7_15
	s_branch .LBB7_16
.LBB7_14:
                                        ; implicit-def: $vgpr2
	s_xor_b64 s[8:9], s[6:7], -1
.LBB7_15:
	v_mul_lo_u32 v2, s14, v0
	v_add3_u32 v2, v2, s14, v4
.LBB7_16:
	v_cndmask_b32_e64 v3, 0, 1, s[8:9]
	v_cmp_ne_u32_e64 s[6:7], 1, v3
	s_andn2_b64 vcc, exec, s[8:9]
	s_cbranch_vccnz .LBB7_18
; %bb.17:
	v_mul_lo_u32 v3, s15, v0
	v_add3_u32 v3, v3, s15, v4
	s_cbranch_execz .LBB7_19
	s_branch .LBB7_20
.LBB7_18:
                                        ; implicit-def: $vgpr3
.LBB7_19:
	v_add_u32_e32 v3, 1, v1
.LBB7_20:
	v_cndmask_b32_e64 v6, 0, 1, s[10:11]
	v_mov_b32_e32 v18, 0
	v_cmp_ne_u32_e64 s[8:9], 1, v6
	s_andn2_b64 vcc, exec, s[10:11]
	v_mov_b32_e32 v17, 0
	s_cbranch_vccnz .LBB7_22
; %bb.21:
	v_add_u32_e32 v6, s21, v2
	v_mov_b32_e32 v7, 0
	v_lshlrev_b64 v[6:7], 2, v[6:7]
	v_mov_b32_e32 v2, s19
	v_add_co_u32_e32 v6, vcc, s18, v6
	v_addc_co_u32_e32 v7, vcc, v2, v7, vcc
	global_load_dword v17, v[6:7], off
.LBB7_22:
	v_cndmask_b32_e64 v2, 0, 1, s[22:23]
	v_cmp_ne_u32_e64 s[10:11], 1, v2
	s_andn2_b64 vcc, exec, s[22:23]
	s_cbranch_vccnz .LBB7_24
; %bb.23:
	v_add_u32_e32 v2, s21, v3
	v_mov_b32_e32 v3, 0
	v_lshlrev_b64 v[2:3], 2, v[2:3]
	v_mov_b32_e32 v6, s25
	v_add_co_u32_e32 v2, vcc, s24, v2
	v_addc_co_u32_e32 v3, vcc, v6, v3, vcc
	global_load_dword v18, v[2:3], off
.LBB7_24:
	s_and_b64 vcc, exec, s[4:5]
	s_cbranch_vccnz .LBB7_26
; %bb.25:
	v_add_u32_e32 v2, 2, v5
	v_add_u32_e32 v6, 2, v0
	s_cbranch_execz .LBB7_27
	s_branch .LBB7_28
.LBB7_26:
                                        ; implicit-def: $vgpr2
	v_add_u32_e32 v6, 2, v0
.LBB7_27:
	v_mad_u64_u32 v[2:3], s[22:23], v6, s14, v[4:5]
.LBB7_28:
	s_and_b64 vcc, exec, s[6:7]
	s_cbranch_vccnz .LBB7_30
; %bb.29:
	v_mad_u64_u32 v[6:7], s[22:23], v6, s15, v[4:5]
	s_cbranch_execz .LBB7_31
	s_branch .LBB7_32
.LBB7_30:
                                        ; implicit-def: $vgpr6
.LBB7_31:
	v_add_u32_e32 v6, 2, v1
.LBB7_32:
	v_mov_b32_e32 v19, 0
	s_and_b64 vcc, exec, s[8:9]
	v_mov_b32_e32 v7, 0
	s_cbranch_vccnz .LBB7_34
; %bb.33:
	v_add_u32_e32 v2, s21, v2
	v_mov_b32_e32 v3, 0
	v_lshlrev_b64 v[2:3], 2, v[2:3]
	v_mov_b32_e32 v7, s19
	v_add_co_u32_e32 v2, vcc, s18, v2
	v_addc_co_u32_e32 v3, vcc, v7, v3, vcc
	global_load_dword v7, v[2:3], off
.LBB7_34:
	s_and_b64 vcc, exec, s[10:11]
	s_cbranch_vccnz .LBB7_36
; %bb.35:
	v_add_u32_e32 v2, s21, v6
	v_mov_b32_e32 v3, 0
	v_lshlrev_b64 v[2:3], 2, v[2:3]
	v_mov_b32_e32 v6, s25
	v_add_co_u32_e32 v2, vcc, s24, v2
	v_addc_co_u32_e32 v3, vcc, v6, v3, vcc
	global_load_dword v19, v[2:3], off
.LBB7_36:
	s_and_b64 vcc, exec, s[4:5]
	s_cbranch_vccnz .LBB7_38
; %bb.37:
	v_add_u32_e32 v2, 3, v5
	v_add_u32_e32 v0, 3, v0
	s_cbranch_execz .LBB7_39
	s_branch .LBB7_40
.LBB7_38:
                                        ; implicit-def: $vgpr2
	v_add_u32_e32 v0, 3, v0
.LBB7_39:
	v_mad_u64_u32 v[2:3], s[4:5], v0, s14, v[4:5]
.LBB7_40:
	s_and_b64 vcc, exec, s[6:7]
	s_cbranch_vccnz .LBB7_42
; %bb.41:
	v_mad_u64_u32 v[5:6], s[4:5], v0, s15, v[4:5]
	s_cbranch_execz .LBB7_43
	s_branch .LBB7_44
.LBB7_42:
                                        ; implicit-def: $vgpr5
.LBB7_43:
	v_add_u32_e32 v5, 3, v1
.LBB7_44:
	v_mov_b32_e32 v3, 0
	s_and_b64 vcc, exec, s[8:9]
	v_mov_b32_e32 v6, 0
	s_cbranch_vccnz .LBB7_46
; %bb.45:
	v_add_u32_e32 v0, s21, v2
	v_mov_b32_e32 v1, 0
	v_lshlrev_b64 v[0:1], 2, v[0:1]
	v_mov_b32_e32 v2, s19
	v_add_co_u32_e32 v0, vcc, s18, v0
	v_addc_co_u32_e32 v1, vcc, v2, v1, vcc
	global_load_dword v6, v[0:1], off
.LBB7_46:
	s_and_b64 vcc, exec, s[10:11]
	s_cbranch_vccnz .LBB7_48
; %bb.47:
	v_add_u32_e32 v0, s21, v5
	v_mov_b32_e32 v1, 0
	v_lshlrev_b64 v[0:1], 2, v[0:1]
	v_mov_b32_e32 v2, s25
	v_add_co_u32_e32 v0, vcc, s24, v0
	v_addc_co_u32_e32 v1, vcc, v2, v1, vcc
	global_load_dword v3, v[0:1], off
.LBB7_48:
	s_load_dwordx2 s[4:5], s[26:27], 0x4
	s_waitcnt vmcnt(0)
	v_mul_f32_e32 v2, v14, v19
	v_mul_f32_e32 v0, v14, v16
	;; [unrolled: 1-line block ×4, first 2 shown]
	s_waitcnt lgkmcnt(0)
	s_lshr_b32 s4, s4, 16
	s_mul_i32 s4, s4, s5
	v_mul_lo_u32 v5, s4, v42
	v_fmac_f32_e32 v2, v13, v7
	v_fmac_f32_e32 v0, v13, v15
	;; [unrolled: 1-line block ×3, first 2 shown]
	v_mad_u32_u24 v7, v43, s5, v5
	v_add_lshl_u32 v7, v7, v41, 4
	v_fmac_f32_e32 v3, v13, v6
	v_cmp_ge_u32_e32 vcc, s13, v12
	ds_write_b128 v7, v[0:3]
	s_and_saveexec_b64 s[6:7], vcc
	s_xor_b64 s[6:7], exec, s[6:7]
	s_cbranch_execz .LBB7_50
; %bb.49:
	v_mul_lo_u32 v4, v4, s20
	v_mov_b32_e32 v5, 0
	v_mov_b32_e32 v8, s17
                                        ; implicit-def: $vgpr10
                                        ; implicit-def: $vgpr12
                                        ; implicit-def: $vgpr42
                                        ; implicit-def: $vgpr43
                                        ; implicit-def: $vgpr41
	v_add3_u32 v4, v9, s21, v4
	v_sub_u32_e32 v4, v4, v11
	v_lshlrev_b64 v[6:7], 2, v[4:5]
                                        ; implicit-def: $vgpr9
                                        ; implicit-def: $vgpr11
	v_add_co_u32_e32 v6, vcc, s16, v6
	v_addc_co_u32_e32 v7, vcc, v8, v7, vcc
	global_store_dword v[6:7], v0, off
	v_add_u32_e32 v6, 1, v4
	v_mov_b32_e32 v7, v5
	v_lshlrev_b64 v[6:7], 2, v[6:7]
	v_mov_b32_e32 v0, s17
	v_add_co_u32_e32 v6, vcc, s16, v6
	v_addc_co_u32_e32 v7, vcc, v0, v7, vcc
	global_store_dword v[6:7], v1, off
	v_add_u32_e32 v0, 2, v4
	v_mov_b32_e32 v1, v5
	v_lshlrev_b64 v[0:1], 2, v[0:1]
	v_mov_b32_e32 v6, s17
	v_add_co_u32_e32 v0, vcc, s16, v0
	v_addc_co_u32_e32 v1, vcc, v6, v1, vcc
	v_add_u32_e32 v4, 3, v4
	global_store_dword v[0:1], v2, off
	v_lshlrev_b64 v[0:1], 2, v[4:5]
	v_mov_b32_e32 v2, s17
	v_add_co_u32_e32 v0, vcc, s16, v0
	v_addc_co_u32_e32 v1, vcc, v2, v1, vcc
	global_store_dword v[0:1], v3, off
                                        ; implicit-def: $vgpr8
                                        ; implicit-def: $vgpr5
.LBB7_50:
	s_andn2_saveexec_b64 s[6:7], s[6:7]
	s_cbranch_execz .LBB7_54
; %bb.51:
	v_cmp_gt_u32_e32 vcc, 4, v11
	s_and_b64 exec, exec, vcc
	s_cbranch_execz .LBB7_54
; %bb.52:
	v_lshl_or_b32 v0, s34, 4, v8
	s_lshl_b32 s4, s31, 4
	v_mul_u32_u24_e32 v1, s5, v43
	v_subrev_u32_e32 v0, s4, v0
	v_lshrrev_b32_e32 v4, 4, v42
	v_mul_lo_u32 v0, s20, v0
	v_add3_u32 v1, v1, v41, v4
	v_min_u32_e32 v3, s13, v12
	v_add_lshl_u32 v1, v1, v5, 4
	v_sub_u32_e32 v2, v9, v3
	v_lshl_add_u32 v1, s30, 8, v1
	v_lshlrev_b32_e32 v3, 2, v3
	s_add_i32 s12, s12, s21
	v_sub_u32_e32 v1, v1, v3
	v_add_u32_e32 v2, 3, v2
	v_add3_u32 v0, s12, v0, v10
	v_add_u32_e32 v3, 16, v1
	s_mov_b64 s[6:7], 0
	v_mov_b32_e32 v1, 0
	v_mov_b32_e32 v4, s17
.LBB7_53:                               ; =>This Inner Loop Header: Depth=1
	ds_read_b32 v7, v3
	v_lshlrev_b64 v[5:6], 2, v[0:1]
	v_add_u32_e32 v2, 1, v2
	v_cmp_lt_u32_e32 vcc, 2, v2
	v_add_co_u32_e64 v5, s[4:5], s16, v5
	v_add_u32_e32 v0, 1, v0
	v_add_u32_e32 v3, 4, v3
	v_addc_co_u32_e64 v6, s[4:5], v4, v6, s[4:5]
	s_or_b64 s[6:7], vcc, s[6:7]
	s_waitcnt lgkmcnt(0)
	global_store_dword v[5:6], v7, off
	s_andn2_b64 exec, exec, s[6:7]
	s_cbranch_execnz .LBB7_53
.LBB7_54:
	s_endpgm
	.section	.rodata,"a",@progbits
	.p2align	6, 0x0
	.amdhsa_kernel Transform_S_S_101_16_16_VW_4
		.amdhsa_group_segment_fixed_size 16384
		.amdhsa_private_segment_fixed_size 64
		.amdhsa_kernarg_size 344
		.amdhsa_user_sgpr_count 10
		.amdhsa_user_sgpr_private_segment_buffer 1
		.amdhsa_user_sgpr_dispatch_ptr 1
		.amdhsa_user_sgpr_queue_ptr 0
		.amdhsa_user_sgpr_kernarg_segment_ptr 1
		.amdhsa_user_sgpr_dispatch_id 0
		.amdhsa_user_sgpr_flat_scratch_init 1
		.amdhsa_user_sgpr_private_segment_size 0
		.amdhsa_uses_dynamic_stack 0
		.amdhsa_system_sgpr_private_segment_wavefront_offset 1
		.amdhsa_system_sgpr_workgroup_id_x 1
		.amdhsa_system_sgpr_workgroup_id_y 0
		.amdhsa_system_sgpr_workgroup_id_z 1
		.amdhsa_system_sgpr_workgroup_info 0
		.amdhsa_system_vgpr_workitem_id 2
		.amdhsa_next_free_vgpr 44
		.amdhsa_next_free_sgpr 36
		.amdhsa_reserve_vcc 1
		.amdhsa_reserve_flat_scratch 1
		.amdhsa_float_round_mode_32 0
		.amdhsa_float_round_mode_16_64 0
		.amdhsa_float_denorm_mode_32 3
		.amdhsa_float_denorm_mode_16_64 3
		.amdhsa_dx10_clamp 1
		.amdhsa_ieee_mode 1
		.amdhsa_fp16_overflow 0
		.amdhsa_exception_fp_ieee_invalid_op 0
		.amdhsa_exception_fp_denorm_src 0
		.amdhsa_exception_fp_ieee_div_zero 0
		.amdhsa_exception_fp_ieee_overflow 0
		.amdhsa_exception_fp_ieee_underflow 0
		.amdhsa_exception_fp_ieee_inexact 0
		.amdhsa_exception_int_div_zero 0
	.end_amdhsa_kernel
	.text
.Lfunc_end7:
	.size	Transform_S_S_101_16_16_VW_4, .Lfunc_end7-Transform_S_S_101_16_16_VW_4
                                        ; -- End function
	.set Transform_S_S_101_16_16_VW_4.num_vgpr, max(44, .L__assert_fail.num_vgpr)
	.set Transform_S_S_101_16_16_VW_4.num_agpr, max(0, .L__assert_fail.num_agpr)
	.set Transform_S_S_101_16_16_VW_4.numbered_sgpr, max(36, .L__assert_fail.numbered_sgpr)
	.set Transform_S_S_101_16_16_VW_4.num_named_barrier, max(0, .L__assert_fail.num_named_barrier)
	.set Transform_S_S_101_16_16_VW_4.private_seg_size, 0+max(.L__assert_fail.private_seg_size)
	.set Transform_S_S_101_16_16_VW_4.uses_vcc, or(1, .L__assert_fail.uses_vcc)
	.set Transform_S_S_101_16_16_VW_4.uses_flat_scratch, or(1, .L__assert_fail.uses_flat_scratch)
	.set Transform_S_S_101_16_16_VW_4.has_dyn_sized_stack, or(0, .L__assert_fail.has_dyn_sized_stack)
	.set Transform_S_S_101_16_16_VW_4.has_recursion, or(0, .L__assert_fail.has_recursion)
	.set Transform_S_S_101_16_16_VW_4.has_indirect_call, or(0, .L__assert_fail.has_indirect_call)
	.section	.AMDGPU.csdata,"",@progbits
; Kernel info:
; codeLenInByte = 1680
; TotalNumSgprs: 42
; NumVgprs: 44
; ScratchSize: 64
; MemoryBound: 0
; FloatMode: 240
; IeeeMode: 1
; LDSByteSize: 16384 bytes/workgroup (compile time only)
; SGPRBlocks: 5
; VGPRBlocks: 10
; NumSGPRsForWavesPerEU: 42
; NumVGPRsForWavesPerEU: 44
; Occupancy: 5
; WaveLimiterHint : 1
; COMPUTE_PGM_RSRC2:SCRATCH_EN: 1
; COMPUTE_PGM_RSRC2:USER_SGPR: 10
; COMPUTE_PGM_RSRC2:TRAP_HANDLER: 0
; COMPUTE_PGM_RSRC2:TGID_X_EN: 1
; COMPUTE_PGM_RSRC2:TGID_Y_EN: 0
; COMPUTE_PGM_RSRC2:TGID_Z_EN: 1
; COMPUTE_PGM_RSRC2:TIDIG_COMP_CNT: 2
	.text
	.protected	Transform_S_S_100_16_16_VW_1 ; -- Begin function Transform_S_S_100_16_16_VW_1
	.globl	Transform_S_S_100_16_16_VW_1
	.p2align	8
	.type	Transform_S_S_100_16_16_VW_1,@function
Transform_S_S_100_16_16_VW_1:           ; @Transform_S_S_100_16_16_VW_1
; %bb.0:
	s_mov_b64 s[26:27], s[4:5]
	s_load_dword s4, s[4:5], 0x64
	s_add_u32 flat_scratch_lo, s6, s10
	s_addc_u32 flat_scratch_hi, s7, 0
	s_add_u32 s0, s0, s10
	s_addc_u32 s1, s1, 0
	s_waitcnt lgkmcnt(0)
	s_and_b32 s4, s4, 0xffff
	s_mov_b32 s28, s9
	s_mov_b32 s29, s8
	v_mov_b32_e32 v41, v0
	s_cmpk_eq_i32 s4, 0x100
	s_mov_b64 s[4:5], -1
	s_mov_b32 s32, 0
	s_cbranch_scc1 .LBB8_2
; %bb.1:
	s_add_u32 s8, s26, 0x58
	s_addc_u32 s9, s27, 0
	s_getpc_b64 s[4:5]
	s_add_u32 s4, s4, __PRETTY_FUNCTION__._ZN10amd_detail9transformIffLb1ELb0ELb0ELj16ELj16ELj1EEEvPT_PKS1_S4_T0_PKS5_S5_S7_jjjjjjbb@rel32@lo+4
	s_addc_u32 s5, s5, __PRETTY_FUNCTION__._ZN10amd_detail9transformIffLb1ELb0ELb0ELj16ELj16ELj1EEEvPT_PKS1_S4_T0_PKS5_S5_S7_jjjjjjbb@rel32@hi+12
	s_getpc_b64 s[6:7]
	s_add_u32 s6, s6, __assert_fail@rel32@lo+4
	s_addc_u32 s7, s7, __assert_fail@rel32@hi+12
	v_mov_b32_e32 v0, s4
	v_mov_b32_e32 v1, s5
	s_swappc_b64 s[30:31], s[6:7]
	s_mov_b64 s[4:5], 0
	; divergent unreachable
.LBB8_2:
	s_andn2_b64 vcc, exec, s[4:5]
	s_cbranch_vccnz .LBB8_13
; %bb.3:
	s_load_dwordx8 s[4:11], s[26:27], 0x38
	s_waitcnt lgkmcnt(0)
	s_lshr_b32 s11, s4, 4
	s_and_b32 s12, s4, 15
	s_cmp_lg_u32 s12, 0
	s_cselect_b64 s[12:13], -1, 0
	s_cmp_lg_u64 s[12:13], 0
	s_addc_u32 s11, s11, 0
	v_cvt_f32_u32_e32 v0, s11
	s_load_dword s15, s[26:27], 0x18
	s_load_dwordx2 s[12:13], s[26:27], 0x20
	s_sub_i32 s14, 0, s11
	v_rcp_iflag_f32_e32 v0, v0
	v_mul_f32_e32 v0, 0x4f7ffffe, v0
	v_cvt_u32_f32_e32 v0, v0
	v_readfirstlane_b32 s16, v0
	s_mul_i32 s14, s14, s16
	s_mul_hi_u32 s14, s16, s14
	s_add_i32 s16, s16, s14
	s_mul_hi_u32 s14, s29, s16
	s_waitcnt lgkmcnt(0)
	s_cmp_eq_u64 s[12:13], 0
	v_mov_b32_e32 v0, s15
	s_cbranch_scc1 .LBB8_5
; %bb.4:
	v_mov_b32_e32 v0, 0
	global_load_dword v0, v0, s[12:13]
.LBB8_5:
	s_load_dwordx2 s[12:13], s[26:27], 0x30
	s_load_dword s15, s[26:27], 0x28
	s_waitcnt lgkmcnt(0)
	s_cmp_eq_u64 s[12:13], 0
	v_mov_b32_e32 v1, s15
	s_cbranch_scc1 .LBB8_7
; %bb.6:
	v_mov_b32_e32 v1, 0
	global_load_dword v1, v1, s[12:13]
.LBB8_7:
	s_mul_i32 s12, s14, s11
	s_sub_i32 s12, s29, s12
	s_add_i32 s13, s14, 1
	s_sub_i32 s15, s12, s11
	s_cmp_ge_u32 s12, s11
	s_cselect_b32 s13, s13, s14
	s_cselect_b32 s12, s15, s12
	s_add_i32 s14, s13, 1
	s_cmp_ge_u32 s12, s11
	s_cselect_b32 s12, s14, s13
	s_mul_i32 s11, s12, s11
	s_sub_i32 s11, s29, s11
	v_and_b32_e32 v2, 15, v41
	v_lshrrev_b32_e32 v3, 4, v41
	v_lshl_or_b32 v2, s11, 4, v2
	v_lshl_add_u32 v3, s12, 4, v3
	v_cmp_gt_u32_e32 vcc, s4, v2
	v_cmp_gt_u32_e64 s[4:5], s5, v3
	s_and_b64 s[4:5], vcc, s[4:5]
	s_and_saveexec_b64 s[12:13], s[4:5]
	s_cbranch_execz .LBB8_13
; %bb.8:
	s_load_dwordx4 s[12:15], s[26:27], 0x0
	s_load_dwordx2 s[4:5], s[26:27], 0x10
	s_mul_i32 s9, s9, s28
	v_mov_b32_e32 v5, 0
	v_mov_b32_e32 v4, 0
	s_waitcnt lgkmcnt(0)
	s_cmp_eq_u64 s[14:15], 0
	s_cbranch_scc1 .LBB8_10
; %bb.9:
	s_bitcmp1_b32 s10, 0
	s_cselect_b64 vcc, -1, 0
	v_cndmask_b32_e32 v4, v2, v3, vcc
	v_mul_lo_u32 v4, v4, s6
	v_cndmask_b32_e32 v6, v3, v2, vcc
	v_mov_b32_e32 v7, 0
	v_add3_u32 v6, v6, s9, v4
	v_lshlrev_b64 v[6:7], 2, v[6:7]
	v_mov_b32_e32 v4, s15
	v_add_co_u32_e32 v6, vcc, s14, v6
	v_addc_co_u32_e32 v7, vcc, v4, v7, vcc
	global_load_dword v4, v[6:7], off
.LBB8_10:
	s_cmp_eq_u64 s[4:5], 0
	s_cbranch_scc1 .LBB8_12
; %bb.11:
	s_load_dword s6, s[26:27], 0x50
	v_mov_b32_e32 v6, 0
	v_mov_b32_e32 v7, s5
	s_waitcnt lgkmcnt(0)
	s_bitcmp1_b32 s6, 8
	s_cselect_b64 vcc, -1, 0
	v_cndmask_b32_e32 v5, v3, v2, vcc
	v_mul_lo_u32 v5, v5, s7
	v_cndmask_b32_e32 v8, v2, v3, vcc
	v_add3_u32 v5, v8, s9, v5
	v_lshlrev_b64 v[5:6], 2, v[5:6]
	v_add_co_u32_e32 v5, vcc, s4, v5
	v_addc_co_u32_e32 v6, vcc, v7, v6, vcc
	global_load_dword v5, v[5:6], off
.LBB8_12:
	v_mul_lo_u32 v3, v3, s8
	s_waitcnt vmcnt(0)
	v_mul_f32_e32 v5, v1, v5
	v_mov_b32_e32 v1, 0
	v_fmac_f32_e32 v5, v0, v4
	v_add3_u32 v0, v2, s9, v3
	v_lshlrev_b64 v[0:1], 2, v[0:1]
	v_mov_b32_e32 v2, s13
	v_add_co_u32_e32 v0, vcc, s12, v0
	v_addc_co_u32_e32 v1, vcc, v2, v1, vcc
	global_store_dword v[0:1], v5, off
.LBB8_13:
	s_endpgm
	.section	.rodata,"a",@progbits
	.p2align	6, 0x0
	.amdhsa_kernel Transform_S_S_100_16_16_VW_1
		.amdhsa_group_segment_fixed_size 0
		.amdhsa_private_segment_fixed_size 64
		.amdhsa_kernarg_size 344
		.amdhsa_user_sgpr_count 8
		.amdhsa_user_sgpr_private_segment_buffer 1
		.amdhsa_user_sgpr_dispatch_ptr 0
		.amdhsa_user_sgpr_queue_ptr 0
		.amdhsa_user_sgpr_kernarg_segment_ptr 1
		.amdhsa_user_sgpr_dispatch_id 0
		.amdhsa_user_sgpr_flat_scratch_init 1
		.amdhsa_user_sgpr_private_segment_size 0
		.amdhsa_uses_dynamic_stack 0
		.amdhsa_system_sgpr_private_segment_wavefront_offset 1
		.amdhsa_system_sgpr_workgroup_id_x 1
		.amdhsa_system_sgpr_workgroup_id_y 0
		.amdhsa_system_sgpr_workgroup_id_z 1
		.amdhsa_system_sgpr_workgroup_info 0
		.amdhsa_system_vgpr_workitem_id 0
		.amdhsa_next_free_vgpr 42
		.amdhsa_next_free_sgpr 34
		.amdhsa_reserve_vcc 1
		.amdhsa_reserve_flat_scratch 1
		.amdhsa_float_round_mode_32 0
		.amdhsa_float_round_mode_16_64 0
		.amdhsa_float_denorm_mode_32 3
		.amdhsa_float_denorm_mode_16_64 3
		.amdhsa_dx10_clamp 1
		.amdhsa_ieee_mode 1
		.amdhsa_fp16_overflow 0
		.amdhsa_exception_fp_ieee_invalid_op 0
		.amdhsa_exception_fp_denorm_src 0
		.amdhsa_exception_fp_ieee_div_zero 0
		.amdhsa_exception_fp_ieee_overflow 0
		.amdhsa_exception_fp_ieee_underflow 0
		.amdhsa_exception_fp_ieee_inexact 0
		.amdhsa_exception_int_div_zero 0
	.end_amdhsa_kernel
	.text
.Lfunc_end8:
	.size	Transform_S_S_100_16_16_VW_1, .Lfunc_end8-Transform_S_S_100_16_16_VW_1
                                        ; -- End function
	.set Transform_S_S_100_16_16_VW_1.num_vgpr, max(42, .L__assert_fail.num_vgpr)
	.set Transform_S_S_100_16_16_VW_1.num_agpr, max(0, .L__assert_fail.num_agpr)
	.set Transform_S_S_100_16_16_VW_1.numbered_sgpr, max(33, .L__assert_fail.numbered_sgpr)
	.set Transform_S_S_100_16_16_VW_1.num_named_barrier, max(0, .L__assert_fail.num_named_barrier)
	.set Transform_S_S_100_16_16_VW_1.private_seg_size, 0+max(.L__assert_fail.private_seg_size)
	.set Transform_S_S_100_16_16_VW_1.uses_vcc, or(1, .L__assert_fail.uses_vcc)
	.set Transform_S_S_100_16_16_VW_1.uses_flat_scratch, or(1, .L__assert_fail.uses_flat_scratch)
	.set Transform_S_S_100_16_16_VW_1.has_dyn_sized_stack, or(0, .L__assert_fail.has_dyn_sized_stack)
	.set Transform_S_S_100_16_16_VW_1.has_recursion, or(0, .L__assert_fail.has_recursion)
	.set Transform_S_S_100_16_16_VW_1.has_indirect_call, or(0, .L__assert_fail.has_indirect_call)
	.section	.AMDGPU.csdata,"",@progbits
; Kernel info:
; codeLenInByte = 660
; TotalNumSgprs: 40
; NumVgprs: 42
; ScratchSize: 64
; MemoryBound: 0
; FloatMode: 240
; IeeeMode: 1
; LDSByteSize: 0 bytes/workgroup (compile time only)
; SGPRBlocks: 4
; VGPRBlocks: 10
; NumSGPRsForWavesPerEU: 40
; NumVGPRsForWavesPerEU: 42
; Occupancy: 5
; WaveLimiterHint : 1
; COMPUTE_PGM_RSRC2:SCRATCH_EN: 1
; COMPUTE_PGM_RSRC2:USER_SGPR: 8
; COMPUTE_PGM_RSRC2:TRAP_HANDLER: 0
; COMPUTE_PGM_RSRC2:TGID_X_EN: 1
; COMPUTE_PGM_RSRC2:TGID_Y_EN: 0
; COMPUTE_PGM_RSRC2:TGID_Z_EN: 1
; COMPUTE_PGM_RSRC2:TIDIG_COMP_CNT: 0
	.text
	.protected	Transform_S_S_100_16_16_VW_4 ; -- Begin function Transform_S_S_100_16_16_VW_4
	.globl	Transform_S_S_100_16_16_VW_4
	.p2align	8
	.type	Transform_S_S_100_16_16_VW_4,@function
Transform_S_S_100_16_16_VW_4:           ; @Transform_S_S_100_16_16_VW_4
; %bb.0:
	s_mov_b64 s[26:27], s[4:5]
	s_load_dword s4, s[6:7], 0x64
	s_add_u32 flat_scratch_lo, s8, s12
	s_addc_u32 flat_scratch_hi, s9, 0
	s_add_u32 s0, s0, s12
	s_addc_u32 s1, s1, 0
	s_waitcnt lgkmcnt(0)
	s_and_b32 s4, s4, 0xffff
	s_mov_b32 s35, s11
	s_mov_b32 s34, s10
	s_mov_b64 s[28:29], s[6:7]
	v_mov_b32_e32 v41, v2
	v_mov_b32_e32 v43, v1
	;; [unrolled: 1-line block ×3, first 2 shown]
	s_cmpk_eq_i32 s4, 0x100
	s_mov_b64 s[4:5], -1
	s_mov_b32 s32, 0
	s_cbranch_scc1 .LBB9_2
; %bb.1:
	s_add_u32 s8, s28, 0x58
	s_addc_u32 s9, s29, 0
	s_getpc_b64 s[4:5]
	s_add_u32 s4, s4, __PRETTY_FUNCTION__._ZN10amd_detail9transformIffLb1ELb0ELb0ELj16ELj16ELj4EEEvPT_PKS1_S4_T0_PKS5_S5_S7_jjjjjjbb@rel32@lo+4
	s_addc_u32 s5, s5, __PRETTY_FUNCTION__._ZN10amd_detail9transformIffLb1ELb0ELb0ELj16ELj16ELj4EEEvPT_PKS1_S4_T0_PKS5_S5_S7_jjjjjjbb@rel32@hi+12
	s_getpc_b64 s[6:7]
	s_add_u32 s6, s6, __assert_fail@rel32@lo+4
	s_addc_u32 s7, s7, __assert_fail@rel32@hi+12
	v_mov_b32_e32 v0, s4
	v_mov_b32_e32 v1, s5
	s_swappc_b64 s[30:31], s[6:7]
	s_mov_b64 s[4:5], 0
	; divergent unreachable
.LBB9_2:
	s_andn2_b64 vcc, exec, s[4:5]
	s_cbranch_vccnz .LBB9_54
; %bb.3:
	s_load_dwordx8 s[12:19], s[28:29], 0x38
	s_waitcnt lgkmcnt(0)
	s_lshr_b32 s6, s12, 6
	s_and_b32 s4, s12, 63
	s_cmp_lg_u32 s4, 0
	s_cselect_b64 s[4:5], -1, 0
	s_cmp_lg_u64 s[4:5], 0
	s_addc_u32 s6, s6, 0
	v_cvt_f32_u32_e32 v0, s6
	s_load_dword s8, s[28:29], 0x18
	s_load_dwordx2 s[4:5], s[28:29], 0x20
	s_sub_i32 s7, 0, s6
	v_rcp_iflag_f32_e32 v0, v0
	s_waitcnt lgkmcnt(0)
	v_mov_b32_e32 v8, s8
	v_mul_f32_e32 v0, 0x4f7ffffe, v0
	v_cvt_u32_f32_e32 v0, v0
	v_readfirstlane_b32 s9, v0
	s_mul_i32 s7, s7, s9
	s_mul_hi_u32 s7, s9, s7
	s_add_i32 s9, s9, s7
	s_mul_hi_u32 s7, s34, s9
	s_cmp_eq_u64 s[4:5], 0
	s_cbranch_scc1 .LBB9_5
; %bb.4:
	v_mov_b32_e32 v0, 0
	global_load_dword v8, v0, s[4:5]
.LBB9_5:
	s_load_dwordx2 s[4:5], s[28:29], 0x30
	s_load_dword s8, s[28:29], 0x28
	s_waitcnt lgkmcnt(0)
	s_cmp_eq_u64 s[4:5], 0
	v_mov_b32_e32 v3, s8
	s_cbranch_scc1 .LBB9_7
; %bb.6:
	v_mov_b32_e32 v0, 0
	global_load_dword v3, v0, s[4:5]
.LBB9_7:
	s_mul_i32 s4, s7, s6
	s_sub_i32 s4, s34, s4
	s_add_i32 s5, s7, 1
	s_sub_i32 s8, s4, s6
	s_cmp_ge_u32 s4, s6
	s_cselect_b32 s5, s5, s7
	s_cselect_b32 s4, s8, s4
	s_add_i32 s7, s5, 1
	s_cmp_ge_u32 s4, s6
	s_cselect_b32 s4, s7, s5
	v_lshrrev_b32_e32 v0, 4, v42
	v_lshl_add_u32 v4, s4, 4, v0
	v_cmp_gt_u32_e32 vcc, s13, v4
	s_and_saveexec_b64 s[8:9], vcc
	s_cbranch_execz .LBB9_54
; %bb.8:
	s_mul_i32 s13, s4, s6
	v_lshlrev_b32_e32 v0, 2, v42
	s_sub_i32 s4, s34, s13
	v_and_b32_e32 v9, 60, v0
	v_lshl_or_b32 v11, s4, 6, v9
	v_add_u32_e32 v12, 4, v11
	s_load_dwordx4 s[20:23], s[28:29], 0x0
	s_load_dwordx2 s[24:25], s[28:29], 0x10
	v_sub_u32_e64 v10, v12, s12 clamp
	v_sub_u32_e32 v2, v11, v10
	s_waitcnt vmcnt(0)
	v_mad_u64_u32 v[0:1], s[4:5], v4, s14, v[2:3]
	s_bitcmp1_b32 s18, 0
	s_cselect_b64 vcc, -1, 0
	s_waitcnt lgkmcnt(0)
	s_cmp_lg_u64 s[22:23], 0
	s_mul_i32 s17, s17, s35
	s_cselect_b64 s[10:11], -1, 0
	s_cmp_eq_u64 s[22:23], 0
	v_mov_b32_e32 v14, 0
	v_mov_b32_e32 v13, 0
	s_cbranch_scc1 .LBB9_10
; %bb.9:
	v_mad_u64_u32 v[5:6], s[4:5], v2, s14, v[4:5]
	v_mov_b32_e32 v6, 0
	v_mov_b32_e32 v1, s23
	v_cndmask_b32_e32 v5, v5, v0, vcc
	v_add_u32_e32 v5, s17, v5
	v_lshlrev_b64 v[5:6], 2, v[5:6]
	v_add_co_u32_e64 v5, s[4:5], s22, v5
	v_addc_co_u32_e64 v6, s[4:5], v1, v6, s[4:5]
	global_load_dword v13, v[5:6], off
.LBB9_10:
	s_load_dword s6, s[28:29], 0x50
	s_xor_b64 s[8:9], vcc, -1
	v_mad_u64_u32 v[5:6], s[4:5], v4, s15, v[2:3]
	v_mul_lo_u32 v15, v2, s15
	s_waitcnt lgkmcnt(0)
	s_bitcmp1_b32 s6, 8
	s_cselect_b64 s[6:7], -1, 0
	s_cmp_lg_u64 s[24:25], 0
	s_cselect_b64 s[18:19], -1, 0
	s_cmp_eq_u64 s[24:25], 0
	s_cbranch_scc1 .LBB9_12
; %bb.11:
	v_add_u32_e32 v1, v15, v4
	v_cndmask_b32_e64 v1, v5, v1, s[6:7]
	v_add_u32_e32 v6, s17, v1
	v_mov_b32_e32 v7, 0
	v_lshlrev_b64 v[6:7], 2, v[6:7]
	v_mov_b32_e32 v1, s25
	v_add_co_u32_e32 v6, vcc, s24, v6
	v_addc_co_u32_e32 v7, vcc, v1, v7, vcc
	global_load_dword v14, v[6:7], off
.LBB9_12:
	v_cndmask_b32_e64 v1, 0, 1, s[8:9]
	v_cmp_ne_u32_e64 s[4:5], 1, v1
	s_andn2_b64 vcc, exec, s[8:9]
	s_cbranch_vccnz .LBB9_14
; %bb.13:
	v_mul_lo_u32 v1, s14, v2
	v_add3_u32 v1, v1, s14, v4
	s_xor_b64 s[8:9], s[6:7], -1
	s_cbranch_execz .LBB9_15
	s_branch .LBB9_16
.LBB9_14:
                                        ; implicit-def: $vgpr1
	s_xor_b64 s[8:9], s[6:7], -1
.LBB9_15:
	v_add_u32_e32 v1, 1, v0
.LBB9_16:
	v_cndmask_b32_e64 v6, 0, 1, s[8:9]
	v_cmp_ne_u32_e64 s[6:7], 1, v6
	s_andn2_b64 vcc, exec, s[8:9]
	s_cbranch_vccnz .LBB9_18
; %bb.17:
	v_add_u32_e32 v6, 1, v5
	s_cbranch_execz .LBB9_19
	s_branch .LBB9_20
.LBB9_18:
                                        ; implicit-def: $vgpr6
.LBB9_19:
	v_add3_u32 v6, v15, s15, v4
.LBB9_20:
	v_cndmask_b32_e64 v7, 0, 1, s[10:11]
	v_mov_b32_e32 v17, 0
	v_cmp_ne_u32_e64 s[8:9], 1, v7
	s_andn2_b64 vcc, exec, s[10:11]
	v_mov_b32_e32 v16, 0
	s_cbranch_vccnz .LBB9_22
; %bb.21:
	v_add_u32_e32 v18, s17, v1
	v_mov_b32_e32 v19, 0
	v_lshlrev_b64 v[18:19], 2, v[18:19]
	v_mov_b32_e32 v1, s23
	v_add_co_u32_e32 v18, vcc, s22, v18
	v_addc_co_u32_e32 v19, vcc, v1, v19, vcc
	global_load_dword v16, v[18:19], off
.LBB9_22:
	v_cndmask_b32_e64 v1, 0, 1, s[18:19]
	v_cmp_ne_u32_e64 s[10:11], 1, v1
	s_andn2_b64 vcc, exec, s[18:19]
	s_cbranch_vccnz .LBB9_24
; %bb.23:
	v_add_u32_e32 v6, s17, v6
	v_mov_b32_e32 v7, 0
	v_lshlrev_b64 v[6:7], 2, v[6:7]
	v_mov_b32_e32 v1, s25
	v_add_co_u32_e32 v6, vcc, s24, v6
	v_addc_co_u32_e32 v7, vcc, v1, v7, vcc
	global_load_dword v17, v[6:7], off
.LBB9_24:
	s_and_b64 vcc, exec, s[4:5]
	s_cbranch_vccnz .LBB9_26
; %bb.25:
	v_add_u32_e32 v1, 2, v2
	v_mad_u64_u32 v[6:7], s[18:19], v1, s14, v[4:5]
	s_cbranch_execz .LBB9_27
	s_branch .LBB9_28
.LBB9_26:
                                        ; implicit-def: $vgpr6
.LBB9_27:
	v_add_u32_e32 v6, 2, v0
.LBB9_28:
	s_and_b64 vcc, exec, s[6:7]
	s_cbranch_vccnz .LBB9_30
; %bb.29:
	v_add_u32_e32 v1, 2, v5
	s_cbranch_execz .LBB9_31
	s_branch .LBB9_32
.LBB9_30:
                                        ; implicit-def: $vgpr1
.LBB9_31:
	s_lshl_b32 s18, s15, 1
	v_add3_u32 v1, v15, s18, v4
.LBB9_32:
	v_mov_b32_e32 v18, 0
	s_and_b64 vcc, exec, s[8:9]
	v_mov_b32_e32 v7, 0
	s_cbranch_vccnz .LBB9_34
; %bb.33:
	v_add_u32_e32 v6, s17, v6
	v_mov_b32_e32 v7, 0
	v_lshlrev_b64 v[6:7], 2, v[6:7]
	v_mov_b32_e32 v19, s23
	v_add_co_u32_e32 v6, vcc, s22, v6
	v_addc_co_u32_e32 v7, vcc, v19, v7, vcc
	global_load_dword v7, v[6:7], off
.LBB9_34:
	s_and_b64 vcc, exec, s[10:11]
	s_cbranch_vccnz .LBB9_36
; %bb.35:
	v_add_u32_e32 v18, s17, v1
	v_mov_b32_e32 v19, 0
	v_lshlrev_b64 v[18:19], 2, v[18:19]
	v_mov_b32_e32 v1, s25
	v_add_co_u32_e32 v18, vcc, s24, v18
	v_addc_co_u32_e32 v19, vcc, v1, v19, vcc
	global_load_dword v18, v[18:19], off
.LBB9_36:
	s_and_b64 vcc, exec, s[4:5]
	s_cbranch_vccnz .LBB9_38
; %bb.37:
	v_add_u32_e32 v1, 3, v2
	v_mad_u64_u32 v[1:2], s[4:5], v1, s14, v[4:5]
	s_cbranch_execz .LBB9_39
	s_branch .LBB9_40
.LBB9_38:
                                        ; implicit-def: $vgpr1
.LBB9_39:
	v_add_u32_e32 v1, 3, v0
.LBB9_40:
	s_and_b64 vcc, exec, s[6:7]
	s_cbranch_vccnz .LBB9_42
; %bb.41:
	v_add_u32_e32 v0, 3, v5
	s_cbranch_execz .LBB9_43
	s_branch .LBB9_44
.LBB9_42:
                                        ; implicit-def: $vgpr0
.LBB9_43:
	s_mul_i32 s4, s15, 3
	v_add3_u32 v0, v15, s4, v4
.LBB9_44:
	v_mov_b32_e32 v5, 0
	s_and_b64 vcc, exec, s[8:9]
	v_mov_b32_e32 v6, 0
	s_cbranch_vccnz .LBB9_46
; %bb.45:
	v_add_u32_e32 v1, s17, v1
	v_mov_b32_e32 v2, 0
	v_lshlrev_b64 v[1:2], 2, v[1:2]
	v_mov_b32_e32 v6, s23
	v_add_co_u32_e32 v1, vcc, s22, v1
	v_addc_co_u32_e32 v2, vcc, v6, v2, vcc
	global_load_dword v6, v[1:2], off
.LBB9_46:
	s_and_b64 vcc, exec, s[10:11]
	s_cbranch_vccnz .LBB9_48
; %bb.47:
	v_add_u32_e32 v0, s17, v0
	v_mov_b32_e32 v1, 0
	v_lshlrev_b64 v[0:1], 2, v[0:1]
	v_mov_b32_e32 v2, s25
	v_add_co_u32_e32 v0, vcc, s24, v0
	v_addc_co_u32_e32 v1, vcc, v2, v1, vcc
	global_load_dword v5, v[0:1], off
.LBB9_48:
	s_load_dwordx2 s[4:5], s[26:27], 0x4
	s_waitcnt vmcnt(0)
	v_mul_f32_e32 v0, v3, v14
	v_mul_f32_e32 v1, v3, v17
	;; [unrolled: 1-line block ×4, first 2 shown]
	s_waitcnt lgkmcnt(0)
	s_lshr_b32 s4, s4, 16
	s_mul_i32 s4, s4, s5
	v_mul_lo_u32 v5, s4, v42
	v_mul_lo_u32 v4, v4, s16
	v_fmac_f32_e32 v2, v8, v7
	v_fmac_f32_e32 v0, v8, v13
	v_mad_u32_u24 v7, v43, s5, v5
	v_fmac_f32_e32 v1, v8, v16
	v_add_lshl_u32 v7, v7, v41, 4
	v_fmac_f32_e32 v3, v8, v6
	v_cmp_ge_u32_e32 vcc, s12, v12
	ds_write_b128 v7, v[0:3]
	s_and_saveexec_b64 s[6:7], vcc
	s_xor_b64 s[6:7], exec, s[6:7]
	s_cbranch_execz .LBB9_50
; %bb.49:
	v_add_u32_e32 v5, s17, v11
	v_sub_u32_e32 v5, v5, v10
	v_add_u32_e32 v4, v5, v4
	v_mov_b32_e32 v5, 0
	v_lshlrev_b64 v[6:7], 2, v[4:5]
	v_mov_b32_e32 v8, s21
	v_add_co_u32_e32 v6, vcc, s20, v6
	v_addc_co_u32_e32 v7, vcc, v8, v7, vcc
	global_store_dword v[6:7], v0, off
	v_add_u32_e32 v6, 1, v4
	v_mov_b32_e32 v7, v5
	v_lshlrev_b64 v[6:7], 2, v[6:7]
	v_mov_b32_e32 v0, s21
	v_add_co_u32_e32 v6, vcc, s20, v6
	v_addc_co_u32_e32 v7, vcc, v0, v7, vcc
	global_store_dword v[6:7], v1, off
	v_add_u32_e32 v0, 2, v4
	v_mov_b32_e32 v1, v5
	v_lshlrev_b64 v[0:1], 2, v[0:1]
	v_mov_b32_e32 v6, s21
	v_add_co_u32_e32 v0, vcc, s20, v0
	v_addc_co_u32_e32 v1, vcc, v6, v1, vcc
	v_add_u32_e32 v4, 3, v4
	global_store_dword v[0:1], v2, off
	v_lshlrev_b64 v[0:1], 2, v[4:5]
	v_mov_b32_e32 v2, s21
	v_add_co_u32_e32 v0, vcc, s20, v0
	v_addc_co_u32_e32 v1, vcc, v2, v1, vcc
	global_store_dword v[0:1], v3, off
                                        ; implicit-def: $vgpr10
                                        ; implicit-def: $vgpr43
                                        ; implicit-def: $vgpr9
                                        ; implicit-def: $vgpr4
                                        ; implicit-def: $vgpr41
                                        ; implicit-def: $vgpr5
                                        ; implicit-def: $vgpr42
.LBB9_50:
	s_andn2_saveexec_b64 s[6:7], s[6:7]
	s_cbranch_execz .LBB9_54
; %bb.51:
	v_cmp_gt_u32_e32 vcc, 4, v10
	s_and_b64 exec, exec, vcc
	s_cbranch_execz .LBB9_54
; %bb.52:
	v_mul_u32_u24_e32 v1, s5, v43
	v_lshl_or_b32 v0, s34, 6, v9
	s_lshl_b32 s4, s13, 6
	v_subrev_u32_e32 v2, s4, v0
	v_add3_u32 v0, s17, v4, v0
	v_add3_u32 v1, v1, v41, v5
	v_and_b32_e32 v4, 15, v42
	v_add_u32_e32 v3, 4, v2
	v_add_lshl_u32 v1, v1, v4, 4
	v_min_u32_e32 v3, s12, v3
	v_subrev_u32_e32 v0, s4, v0
	v_lshl_add_u32 v1, s34, 8, v1
	s_lshl_b32 s4, s13, 8
	v_sub_u32_e32 v2, v2, v3
	v_subrev_u32_e32 v1, s4, v1
	v_lshlrev_b32_e32 v3, 2, v3
	v_sub_u32_e32 v1, v1, v3
	v_add_u32_e32 v2, 3, v2
	v_add_u32_e32 v3, 16, v1
	s_mov_b64 s[6:7], 0
	v_mov_b32_e32 v1, 0
	v_mov_b32_e32 v4, s21
.LBB9_53:                               ; =>This Inner Loop Header: Depth=1
	ds_read_b32 v7, v3
	v_lshlrev_b64 v[5:6], 2, v[0:1]
	v_add_u32_e32 v2, 1, v2
	v_cmp_lt_u32_e32 vcc, 2, v2
	v_add_co_u32_e64 v5, s[4:5], s20, v5
	v_add_u32_e32 v0, 1, v0
	v_add_u32_e32 v3, 4, v3
	v_addc_co_u32_e64 v6, s[4:5], v4, v6, s[4:5]
	s_or_b64 s[6:7], vcc, s[6:7]
	s_waitcnt lgkmcnt(0)
	global_store_dword v[5:6], v7, off
	s_andn2_b64 exec, exec, s[6:7]
	s_cbranch_execnz .LBB9_53
.LBB9_54:
	s_endpgm
	.section	.rodata,"a",@progbits
	.p2align	6, 0x0
	.amdhsa_kernel Transform_S_S_100_16_16_VW_4
		.amdhsa_group_segment_fixed_size 16384
		.amdhsa_private_segment_fixed_size 64
		.amdhsa_kernarg_size 344
		.amdhsa_user_sgpr_count 10
		.amdhsa_user_sgpr_private_segment_buffer 1
		.amdhsa_user_sgpr_dispatch_ptr 1
		.amdhsa_user_sgpr_queue_ptr 0
		.amdhsa_user_sgpr_kernarg_segment_ptr 1
		.amdhsa_user_sgpr_dispatch_id 0
		.amdhsa_user_sgpr_flat_scratch_init 1
		.amdhsa_user_sgpr_private_segment_size 0
		.amdhsa_uses_dynamic_stack 0
		.amdhsa_system_sgpr_private_segment_wavefront_offset 1
		.amdhsa_system_sgpr_workgroup_id_x 1
		.amdhsa_system_sgpr_workgroup_id_y 0
		.amdhsa_system_sgpr_workgroup_id_z 1
		.amdhsa_system_sgpr_workgroup_info 0
		.amdhsa_system_vgpr_workitem_id 2
		.amdhsa_next_free_vgpr 44
		.amdhsa_next_free_sgpr 36
		.amdhsa_reserve_vcc 1
		.amdhsa_reserve_flat_scratch 1
		.amdhsa_float_round_mode_32 0
		.amdhsa_float_round_mode_16_64 0
		.amdhsa_float_denorm_mode_32 3
		.amdhsa_float_denorm_mode_16_64 3
		.amdhsa_dx10_clamp 1
		.amdhsa_ieee_mode 1
		.amdhsa_fp16_overflow 0
		.amdhsa_exception_fp_ieee_invalid_op 0
		.amdhsa_exception_fp_denorm_src 0
		.amdhsa_exception_fp_ieee_div_zero 0
		.amdhsa_exception_fp_ieee_overflow 0
		.amdhsa_exception_fp_ieee_underflow 0
		.amdhsa_exception_fp_ieee_inexact 0
		.amdhsa_exception_int_div_zero 0
	.end_amdhsa_kernel
	.text
.Lfunc_end9:
	.size	Transform_S_S_100_16_16_VW_4, .Lfunc_end9-Transform_S_S_100_16_16_VW_4
                                        ; -- End function
	.set Transform_S_S_100_16_16_VW_4.num_vgpr, max(44, .L__assert_fail.num_vgpr)
	.set Transform_S_S_100_16_16_VW_4.num_agpr, max(0, .L__assert_fail.num_agpr)
	.set Transform_S_S_100_16_16_VW_4.numbered_sgpr, max(36, .L__assert_fail.numbered_sgpr)
	.set Transform_S_S_100_16_16_VW_4.num_named_barrier, max(0, .L__assert_fail.num_named_barrier)
	.set Transform_S_S_100_16_16_VW_4.private_seg_size, 0+max(.L__assert_fail.private_seg_size)
	.set Transform_S_S_100_16_16_VW_4.uses_vcc, or(1, .L__assert_fail.uses_vcc)
	.set Transform_S_S_100_16_16_VW_4.uses_flat_scratch, or(1, .L__assert_fail.uses_flat_scratch)
	.set Transform_S_S_100_16_16_VW_4.has_dyn_sized_stack, or(0, .L__assert_fail.has_dyn_sized_stack)
	.set Transform_S_S_100_16_16_VW_4.has_recursion, or(0, .L__assert_fail.has_recursion)
	.set Transform_S_S_100_16_16_VW_4.has_indirect_call, or(0, .L__assert_fail.has_indirect_call)
	.section	.AMDGPU.csdata,"",@progbits
; Kernel info:
; codeLenInByte = 1672
; TotalNumSgprs: 42
; NumVgprs: 44
; ScratchSize: 64
; MemoryBound: 0
; FloatMode: 240
; IeeeMode: 1
; LDSByteSize: 16384 bytes/workgroup (compile time only)
; SGPRBlocks: 5
; VGPRBlocks: 10
; NumSGPRsForWavesPerEU: 42
; NumVGPRsForWavesPerEU: 44
; Occupancy: 5
; WaveLimiterHint : 1
; COMPUTE_PGM_RSRC2:SCRATCH_EN: 1
; COMPUTE_PGM_RSRC2:USER_SGPR: 10
; COMPUTE_PGM_RSRC2:TRAP_HANDLER: 0
; COMPUTE_PGM_RSRC2:TGID_X_EN: 1
; COMPUTE_PGM_RSRC2:TGID_Y_EN: 0
; COMPUTE_PGM_RSRC2:TGID_Z_EN: 1
; COMPUTE_PGM_RSRC2:TIDIG_COMP_CNT: 2
	.text
	.protected	Transform_S_S_011_16_16_VW_1 ; -- Begin function Transform_S_S_011_16_16_VW_1
	.globl	Transform_S_S_011_16_16_VW_1
	.p2align	8
	.type	Transform_S_S_011_16_16_VW_1,@function
Transform_S_S_011_16_16_VW_1:           ; @Transform_S_S_011_16_16_VW_1
; %bb.0:
	s_mov_b64 s[26:27], s[4:5]
	s_load_dword s4, s[4:5], 0x64
	s_add_u32 flat_scratch_lo, s6, s10
	s_addc_u32 flat_scratch_hi, s7, 0
	s_add_u32 s0, s0, s10
	s_addc_u32 s1, s1, 0
	s_waitcnt lgkmcnt(0)
	s_and_b32 s4, s4, 0xffff
	s_mov_b32 s28, s9
	s_mov_b32 s29, s8
	v_mov_b32_e32 v41, v0
	s_cmpk_eq_i32 s4, 0x100
	s_mov_b64 s[4:5], -1
	s_mov_b32 s32, 0
	s_cbranch_scc1 .LBB10_2
; %bb.1:
	s_add_u32 s8, s26, 0x58
	s_addc_u32 s9, s27, 0
	s_getpc_b64 s[4:5]
	s_add_u32 s4, s4, __PRETTY_FUNCTION__._ZN10amd_detail9transformIffLb0ELb1ELb1ELj16ELj16ELj1EEEvPT_PKS1_S4_T0_PKS5_S5_S7_jjjjjjbb@rel32@lo+4
	s_addc_u32 s5, s5, __PRETTY_FUNCTION__._ZN10amd_detail9transformIffLb0ELb1ELb1ELj16ELj16ELj1EEEvPT_PKS1_S4_T0_PKS5_S5_S7_jjjjjjbb@rel32@hi+12
	s_getpc_b64 s[6:7]
	s_add_u32 s6, s6, __assert_fail@rel32@lo+4
	s_addc_u32 s7, s7, __assert_fail@rel32@hi+12
	v_mov_b32_e32 v0, s4
	v_mov_b32_e32 v1, s5
	s_swappc_b64 s[30:31], s[6:7]
	s_mov_b64 s[4:5], 0
	; divergent unreachable
.LBB10_2:
	s_andn2_b64 vcc, exec, s[4:5]
	s_cbranch_vccnz .LBB10_13
; %bb.3:
	s_load_dwordx8 s[4:11], s[26:27], 0x38
	s_waitcnt lgkmcnt(0)
	s_lshr_b32 s11, s4, 4
	s_and_b32 s12, s4, 15
	s_cmp_lg_u32 s12, 0
	s_cselect_b64 s[12:13], -1, 0
	s_cmp_lg_u64 s[12:13], 0
	s_addc_u32 s11, s11, 0
	v_cvt_f32_u32_e32 v0, s11
	s_load_dword s15, s[26:27], 0x18
	s_load_dwordx2 s[12:13], s[26:27], 0x20
	s_sub_i32 s14, 0, s11
	v_rcp_iflag_f32_e32 v0, v0
	v_mul_f32_e32 v0, 0x4f7ffffe, v0
	v_cvt_u32_f32_e32 v0, v0
	v_readfirstlane_b32 s16, v0
	s_mul_i32 s14, s14, s16
	s_mul_hi_u32 s14, s16, s14
	s_add_i32 s16, s16, s14
	s_mul_hi_u32 s14, s29, s16
	s_waitcnt lgkmcnt(0)
	s_cmp_eq_u64 s[12:13], 0
	v_mov_b32_e32 v0, s15
	s_cbranch_scc1 .LBB10_5
; %bb.4:
	v_mov_b32_e32 v0, 0
	global_load_dword v0, v0, s[12:13]
.LBB10_5:
	s_load_dwordx2 s[12:13], s[26:27], 0x30
	s_load_dword s15, s[26:27], 0x28
	s_waitcnt lgkmcnt(0)
	s_cmp_eq_u64 s[12:13], 0
	v_mov_b32_e32 v1, s15
	s_cbranch_scc1 .LBB10_7
; %bb.6:
	v_mov_b32_e32 v1, 0
	global_load_dword v1, v1, s[12:13]
.LBB10_7:
	s_mul_i32 s12, s14, s11
	s_sub_i32 s12, s29, s12
	s_add_i32 s13, s14, 1
	s_sub_i32 s15, s12, s11
	s_cmp_ge_u32 s12, s11
	s_cselect_b32 s13, s13, s14
	s_cselect_b32 s12, s15, s12
	s_add_i32 s14, s13, 1
	s_cmp_ge_u32 s12, s11
	s_cselect_b32 s12, s14, s13
	s_mul_i32 s11, s12, s11
	s_sub_i32 s11, s29, s11
	v_and_b32_e32 v2, 15, v41
	v_lshrrev_b32_e32 v4, 4, v41
	v_lshl_or_b32 v3, s11, 4, v2
	v_lshl_add_u32 v2, s12, 4, v4
	v_cmp_gt_u32_e32 vcc, s4, v3
	v_cmp_gt_u32_e64 s[4:5], s5, v2
	s_and_b64 s[4:5], vcc, s[4:5]
	s_and_saveexec_b64 s[12:13], s[4:5]
	s_cbranch_execz .LBB10_13
; %bb.8:
	s_load_dwordx4 s[12:15], s[26:27], 0x0
	s_load_dwordx2 s[4:5], s[26:27], 0x10
	s_mul_i32 s9, s9, s28
	v_mov_b32_e32 v5, 0
	v_mov_b32_e32 v4, 0
	s_waitcnt lgkmcnt(0)
	s_cmp_eq_u64 s[14:15], 0
	s_cbranch_scc1 .LBB10_10
; %bb.9:
	s_bitcmp1_b32 s10, 0
	s_cselect_b64 vcc, -1, 0
	v_cndmask_b32_e32 v4, v2, v3, vcc
	v_mul_lo_u32 v4, v4, s6
	v_cndmask_b32_e32 v6, v3, v2, vcc
	v_mov_b32_e32 v7, 0
	v_add3_u32 v6, v6, s9, v4
	v_lshlrev_b64 v[6:7], 2, v[6:7]
	v_mov_b32_e32 v4, s15
	v_add_co_u32_e32 v6, vcc, s14, v6
	v_addc_co_u32_e32 v7, vcc, v4, v7, vcc
	global_load_dword v4, v[6:7], off
.LBB10_10:
	s_cmp_eq_u64 s[4:5], 0
	s_cbranch_scc1 .LBB10_12
; %bb.11:
	s_load_dword s6, s[26:27], 0x50
	v_mov_b32_e32 v6, 0
	v_mov_b32_e32 v7, s5
	s_waitcnt lgkmcnt(0)
	s_bitcmp1_b32 s6, 8
	s_cselect_b64 vcc, -1, 0
	v_cndmask_b32_e32 v5, v3, v2, vcc
	v_mul_lo_u32 v5, v5, s7
	v_cndmask_b32_e32 v8, v2, v3, vcc
	v_add3_u32 v5, v8, s9, v5
	v_lshlrev_b64 v[5:6], 2, v[5:6]
	v_add_co_u32_e32 v5, vcc, s4, v5
	v_addc_co_u32_e32 v6, vcc, v7, v6, vcc
	global_load_dword v5, v[5:6], off
.LBB10_12:
	v_mul_lo_u32 v3, v3, s8
	s_waitcnt vmcnt(0)
	v_mul_f32_e32 v5, v1, v5
	v_mov_b32_e32 v1, 0
	v_fmac_f32_e32 v5, v0, v4
	v_add3_u32 v0, v2, s9, v3
	v_lshlrev_b64 v[0:1], 2, v[0:1]
	v_mov_b32_e32 v2, s13
	v_add_co_u32_e32 v0, vcc, s12, v0
	v_addc_co_u32_e32 v1, vcc, v2, v1, vcc
	global_store_dword v[0:1], v5, off
.LBB10_13:
	s_endpgm
	.section	.rodata,"a",@progbits
	.p2align	6, 0x0
	.amdhsa_kernel Transform_S_S_011_16_16_VW_1
		.amdhsa_group_segment_fixed_size 0
		.amdhsa_private_segment_fixed_size 64
		.amdhsa_kernarg_size 344
		.amdhsa_user_sgpr_count 8
		.amdhsa_user_sgpr_private_segment_buffer 1
		.amdhsa_user_sgpr_dispatch_ptr 0
		.amdhsa_user_sgpr_queue_ptr 0
		.amdhsa_user_sgpr_kernarg_segment_ptr 1
		.amdhsa_user_sgpr_dispatch_id 0
		.amdhsa_user_sgpr_flat_scratch_init 1
		.amdhsa_user_sgpr_private_segment_size 0
		.amdhsa_uses_dynamic_stack 0
		.amdhsa_system_sgpr_private_segment_wavefront_offset 1
		.amdhsa_system_sgpr_workgroup_id_x 1
		.amdhsa_system_sgpr_workgroup_id_y 0
		.amdhsa_system_sgpr_workgroup_id_z 1
		.amdhsa_system_sgpr_workgroup_info 0
		.amdhsa_system_vgpr_workitem_id 0
		.amdhsa_next_free_vgpr 42
		.amdhsa_next_free_sgpr 34
		.amdhsa_reserve_vcc 1
		.amdhsa_reserve_flat_scratch 1
		.amdhsa_float_round_mode_32 0
		.amdhsa_float_round_mode_16_64 0
		.amdhsa_float_denorm_mode_32 3
		.amdhsa_float_denorm_mode_16_64 3
		.amdhsa_dx10_clamp 1
		.amdhsa_ieee_mode 1
		.amdhsa_fp16_overflow 0
		.amdhsa_exception_fp_ieee_invalid_op 0
		.amdhsa_exception_fp_denorm_src 0
		.amdhsa_exception_fp_ieee_div_zero 0
		.amdhsa_exception_fp_ieee_overflow 0
		.amdhsa_exception_fp_ieee_underflow 0
		.amdhsa_exception_fp_ieee_inexact 0
		.amdhsa_exception_int_div_zero 0
	.end_amdhsa_kernel
	.text
.Lfunc_end10:
	.size	Transform_S_S_011_16_16_VW_1, .Lfunc_end10-Transform_S_S_011_16_16_VW_1
                                        ; -- End function
	.set Transform_S_S_011_16_16_VW_1.num_vgpr, max(42, .L__assert_fail.num_vgpr)
	.set Transform_S_S_011_16_16_VW_1.num_agpr, max(0, .L__assert_fail.num_agpr)
	.set Transform_S_S_011_16_16_VW_1.numbered_sgpr, max(33, .L__assert_fail.numbered_sgpr)
	.set Transform_S_S_011_16_16_VW_1.num_named_barrier, max(0, .L__assert_fail.num_named_barrier)
	.set Transform_S_S_011_16_16_VW_1.private_seg_size, 0+max(.L__assert_fail.private_seg_size)
	.set Transform_S_S_011_16_16_VW_1.uses_vcc, or(1, .L__assert_fail.uses_vcc)
	.set Transform_S_S_011_16_16_VW_1.uses_flat_scratch, or(1, .L__assert_fail.uses_flat_scratch)
	.set Transform_S_S_011_16_16_VW_1.has_dyn_sized_stack, or(0, .L__assert_fail.has_dyn_sized_stack)
	.set Transform_S_S_011_16_16_VW_1.has_recursion, or(0, .L__assert_fail.has_recursion)
	.set Transform_S_S_011_16_16_VW_1.has_indirect_call, or(0, .L__assert_fail.has_indirect_call)
	.section	.AMDGPU.csdata,"",@progbits
; Kernel info:
; codeLenInByte = 660
; TotalNumSgprs: 40
; NumVgprs: 42
; ScratchSize: 64
; MemoryBound: 0
; FloatMode: 240
; IeeeMode: 1
; LDSByteSize: 0 bytes/workgroup (compile time only)
; SGPRBlocks: 4
; VGPRBlocks: 10
; NumSGPRsForWavesPerEU: 40
; NumVGPRsForWavesPerEU: 42
; Occupancy: 5
; WaveLimiterHint : 1
; COMPUTE_PGM_RSRC2:SCRATCH_EN: 1
; COMPUTE_PGM_RSRC2:USER_SGPR: 8
; COMPUTE_PGM_RSRC2:TRAP_HANDLER: 0
; COMPUTE_PGM_RSRC2:TGID_X_EN: 1
; COMPUTE_PGM_RSRC2:TGID_Y_EN: 0
; COMPUTE_PGM_RSRC2:TGID_Z_EN: 1
; COMPUTE_PGM_RSRC2:TIDIG_COMP_CNT: 0
	.text
	.protected	Transform_S_S_011_16_16_VW_4 ; -- Begin function Transform_S_S_011_16_16_VW_4
	.globl	Transform_S_S_011_16_16_VW_4
	.p2align	8
	.type	Transform_S_S_011_16_16_VW_4,@function
Transform_S_S_011_16_16_VW_4:           ; @Transform_S_S_011_16_16_VW_4
; %bb.0:
	s_mov_b64 s[26:27], s[4:5]
	s_load_dword s4, s[6:7], 0x64
	s_add_u32 flat_scratch_lo, s8, s12
	s_addc_u32 flat_scratch_hi, s9, 0
	s_add_u32 s0, s0, s12
	s_addc_u32 s1, s1, 0
	s_waitcnt lgkmcnt(0)
	s_and_b32 s4, s4, 0xffff
	s_mov_b32 s35, s11
	s_mov_b32 s34, s10
	s_mov_b64 s[28:29], s[6:7]
	v_mov_b32_e32 v41, v2
	v_mov_b32_e32 v43, v1
	;; [unrolled: 1-line block ×3, first 2 shown]
	s_cmpk_eq_i32 s4, 0x100
	s_mov_b64 s[4:5], -1
	s_mov_b32 s32, 0
	s_cbranch_scc1 .LBB11_2
; %bb.1:
	s_add_u32 s8, s28, 0x58
	s_addc_u32 s9, s29, 0
	s_getpc_b64 s[4:5]
	s_add_u32 s4, s4, __PRETTY_FUNCTION__._ZN10amd_detail9transformIffLb0ELb1ELb1ELj16ELj16ELj4EEEvPT_PKS1_S4_T0_PKS5_S5_S7_jjjjjjbb@rel32@lo+4
	s_addc_u32 s5, s5, __PRETTY_FUNCTION__._ZN10amd_detail9transformIffLb0ELb1ELb1ELj16ELj16ELj4EEEvPT_PKS1_S4_T0_PKS5_S5_S7_jjjjjjbb@rel32@hi+12
	s_getpc_b64 s[6:7]
	s_add_u32 s6, s6, __assert_fail@rel32@lo+4
	s_addc_u32 s7, s7, __assert_fail@rel32@hi+12
	v_mov_b32_e32 v0, s4
	v_mov_b32_e32 v1, s5
	s_swappc_b64 s[30:31], s[6:7]
	s_mov_b64 s[4:5], 0
	; divergent unreachable
.LBB11_2:
	s_andn2_b64 vcc, exec, s[4:5]
	s_cbranch_vccnz .LBB11_54
; %bb.3:
	s_load_dwordx4 s[12:15], s[28:29], 0x38
	s_waitcnt lgkmcnt(0)
	s_lshr_b32 s6, s12, 4
	s_and_b32 s4, s12, 15
	s_cmp_lg_u32 s4, 0
	s_cselect_b64 s[4:5], -1, 0
	s_cmp_lg_u64 s[4:5], 0
	s_addc_u32 s6, s6, 0
	v_cvt_f32_u32_e32 v0, s6
	s_load_dword s8, s[28:29], 0x18
	s_load_dwordx2 s[4:5], s[28:29], 0x20
	s_sub_i32 s7, 0, s6
	v_rcp_iflag_f32_e32 v0, v0
	s_waitcnt lgkmcnt(0)
	v_mov_b32_e32 v13, s8
	v_mul_f32_e32 v0, 0x4f7ffffe, v0
	v_cvt_u32_f32_e32 v0, v0
	v_readfirstlane_b32 s9, v0
	s_mul_i32 s7, s7, s9
	s_mul_hi_u32 s7, s9, s7
	s_add_i32 s9, s9, s7
	s_mul_hi_u32 s7, s34, s9
	s_cmp_eq_u64 s[4:5], 0
	s_cbranch_scc1 .LBB11_5
; %bb.4:
	v_mov_b32_e32 v0, 0
	global_load_dword v13, v0, s[4:5]
.LBB11_5:
	s_load_dwordx2 s[4:5], s[28:29], 0x30
	s_load_dword s8, s[28:29], 0x28
	s_waitcnt lgkmcnt(0)
	s_cmp_eq_u64 s[4:5], 0
	v_mov_b32_e32 v3, s8
	s_cbranch_scc1 .LBB11_7
; %bb.6:
	v_mov_b32_e32 v0, 0
	global_load_dword v3, v0, s[4:5]
.LBB11_7:
	s_mul_i32 s4, s7, s6
	s_sub_i32 s4, s34, s4
	s_add_i32 s5, s7, 1
	s_sub_i32 s8, s4, s6
	s_cmp_ge_u32 s4, s6
	s_cselect_b32 s5, s5, s7
	s_cselect_b32 s4, s8, s4
	s_add_i32 s7, s5, 1
	s_cmp_ge_u32 s4, s6
	s_cselect_b32 s30, s7, s5
	s_mul_i32 s31, s30, s6
	s_sub_i32 s4, s34, s31
	v_and_b32_e32 v8, 15, v42
	v_lshl_or_b32 v4, s4, 4, v8
	v_cmp_gt_u32_e32 vcc, s12, v4
	s_and_saveexec_b64 s[4:5], vcc
	s_cbranch_execz .LBB11_54
; %bb.8:
	v_lshrrev_b32_e32 v0, 2, v42
	s_lshl_b32 s12, s30, 6
	v_and_b32_e32 v10, 0xfc, v0
	s_load_dwordx4 s[20:23], s[28:29], 0x48
	v_add_u32_e32 v9, s12, v10
	v_add_u32_e32 v12, 4, v9
	v_sub_u32_e64 v11, v12, s13 clamp
	s_load_dwordx4 s[16:19], s[28:29], 0x0
	s_load_dwordx2 s[24:25], s[28:29], 0x10
	v_sub_u32_e32 v2, v9, v11
	s_waitcnt vmcnt(0)
	v_mad_u64_u32 v[0:1], s[4:5], v4, s14, v[2:3]
	s_waitcnt lgkmcnt(0)
	s_bitcmp1_b32 s22, 0
	s_cselect_b64 vcc, -1, 0
	s_cmp_lg_u64 s[18:19], 0
	s_mul_i32 s21, s21, s35
	s_cselect_b64 s[10:11], -1, 0
	s_cmp_eq_u64 s[18:19], 0
	v_mov_b32_e32 v15, 0
	v_mov_b32_e32 v14, 0
	s_cbranch_scc1 .LBB11_10
; %bb.9:
	v_mad_u64_u32 v[5:6], s[4:5], v2, s14, v[4:5]
	v_mov_b32_e32 v6, 0
	v_mov_b32_e32 v1, s19
	v_cndmask_b32_e32 v5, v5, v0, vcc
	v_add_u32_e32 v5, s21, v5
	v_lshlrev_b64 v[5:6], 2, v[5:6]
	v_add_co_u32_e64 v5, s[4:5], s18, v5
	v_addc_co_u32_e64 v6, s[4:5], v1, v6, s[4:5]
	global_load_dword v14, v[5:6], off
.LBB11_10:
	s_load_dword s6, s[28:29], 0x50
	s_xor_b64 s[8:9], vcc, -1
	v_mad_u64_u32 v[5:6], s[4:5], v4, s15, v[2:3]
	v_mul_lo_u32 v16, v2, s15
	s_waitcnt lgkmcnt(0)
	s_bitcmp1_b32 s6, 8
	s_cselect_b64 s[6:7], -1, 0
	s_cmp_lg_u64 s[24:25], 0
	s_cselect_b64 s[22:23], -1, 0
	s_cmp_eq_u64 s[24:25], 0
	s_cbranch_scc1 .LBB11_12
; %bb.11:
	v_add_u32_e32 v1, v16, v4
	v_cndmask_b32_e64 v1, v5, v1, s[6:7]
	v_add_u32_e32 v6, s21, v1
	v_mov_b32_e32 v7, 0
	v_lshlrev_b64 v[6:7], 2, v[6:7]
	v_mov_b32_e32 v1, s25
	v_add_co_u32_e32 v6, vcc, s24, v6
	v_addc_co_u32_e32 v7, vcc, v1, v7, vcc
	global_load_dword v15, v[6:7], off
.LBB11_12:
	v_cndmask_b32_e64 v1, 0, 1, s[8:9]
	v_cmp_ne_u32_e64 s[4:5], 1, v1
	s_andn2_b64 vcc, exec, s[8:9]
	s_cbranch_vccnz .LBB11_14
; %bb.13:
	v_mul_lo_u32 v1, s14, v2
	v_add3_u32 v1, v1, s14, v4
	s_xor_b64 s[8:9], s[6:7], -1
	s_cbranch_execz .LBB11_15
	s_branch .LBB11_16
.LBB11_14:
                                        ; implicit-def: $vgpr1
	s_xor_b64 s[8:9], s[6:7], -1
.LBB11_15:
	v_add_u32_e32 v1, 1, v0
.LBB11_16:
	v_cndmask_b32_e64 v6, 0, 1, s[8:9]
	v_cmp_ne_u32_e64 s[6:7], 1, v6
	s_andn2_b64 vcc, exec, s[8:9]
	s_cbranch_vccnz .LBB11_18
; %bb.17:
	v_add_u32_e32 v6, 1, v5
	s_cbranch_execz .LBB11_19
	s_branch .LBB11_20
.LBB11_18:
                                        ; implicit-def: $vgpr6
.LBB11_19:
	v_add3_u32 v6, v16, s15, v4
.LBB11_20:
	v_cndmask_b32_e64 v7, 0, 1, s[10:11]
	v_mov_b32_e32 v18, 0
	v_cmp_ne_u32_e64 s[8:9], 1, v7
	s_andn2_b64 vcc, exec, s[10:11]
	v_mov_b32_e32 v17, 0
	s_cbranch_vccnz .LBB11_22
; %bb.21:
	v_add_u32_e32 v19, s21, v1
	v_mov_b32_e32 v20, 0
	v_lshlrev_b64 v[19:20], 2, v[19:20]
	v_mov_b32_e32 v1, s19
	v_add_co_u32_e32 v19, vcc, s18, v19
	v_addc_co_u32_e32 v20, vcc, v1, v20, vcc
	global_load_dword v17, v[19:20], off
.LBB11_22:
	v_cndmask_b32_e64 v1, 0, 1, s[22:23]
	v_cmp_ne_u32_e64 s[10:11], 1, v1
	s_andn2_b64 vcc, exec, s[22:23]
	s_cbranch_vccnz .LBB11_24
; %bb.23:
	v_add_u32_e32 v6, s21, v6
	v_mov_b32_e32 v7, 0
	v_lshlrev_b64 v[6:7], 2, v[6:7]
	v_mov_b32_e32 v1, s25
	v_add_co_u32_e32 v6, vcc, s24, v6
	v_addc_co_u32_e32 v7, vcc, v1, v7, vcc
	global_load_dword v18, v[6:7], off
.LBB11_24:
	s_and_b64 vcc, exec, s[4:5]
	s_cbranch_vccnz .LBB11_26
; %bb.25:
	v_add_u32_e32 v1, 2, v2
	v_mad_u64_u32 v[6:7], s[22:23], v1, s14, v[4:5]
	s_cbranch_execz .LBB11_27
	s_branch .LBB11_28
.LBB11_26:
                                        ; implicit-def: $vgpr6
.LBB11_27:
	v_add_u32_e32 v6, 2, v0
.LBB11_28:
	s_and_b64 vcc, exec, s[6:7]
	s_cbranch_vccnz .LBB11_30
; %bb.29:
	v_add_u32_e32 v1, 2, v5
	s_cbranch_execz .LBB11_31
	s_branch .LBB11_32
.LBB11_30:
                                        ; implicit-def: $vgpr1
.LBB11_31:
	s_lshl_b32 s22, s15, 1
	v_add3_u32 v1, v16, s22, v4
.LBB11_32:
	v_mov_b32_e32 v19, 0
	s_and_b64 vcc, exec, s[8:9]
	v_mov_b32_e32 v7, 0
	s_cbranch_vccnz .LBB11_34
; %bb.33:
	v_add_u32_e32 v6, s21, v6
	v_mov_b32_e32 v7, 0
	v_lshlrev_b64 v[6:7], 2, v[6:7]
	v_mov_b32_e32 v20, s19
	v_add_co_u32_e32 v6, vcc, s18, v6
	v_addc_co_u32_e32 v7, vcc, v20, v7, vcc
	global_load_dword v7, v[6:7], off
.LBB11_34:
	s_and_b64 vcc, exec, s[10:11]
	s_cbranch_vccnz .LBB11_36
; %bb.35:
	v_add_u32_e32 v19, s21, v1
	v_mov_b32_e32 v20, 0
	v_lshlrev_b64 v[19:20], 2, v[19:20]
	v_mov_b32_e32 v1, s25
	v_add_co_u32_e32 v19, vcc, s24, v19
	v_addc_co_u32_e32 v20, vcc, v1, v20, vcc
	global_load_dword v19, v[19:20], off
.LBB11_36:
	s_and_b64 vcc, exec, s[4:5]
	s_cbranch_vccnz .LBB11_38
; %bb.37:
	v_add_u32_e32 v1, 3, v2
	v_mad_u64_u32 v[1:2], s[4:5], v1, s14, v[4:5]
	s_cbranch_execz .LBB11_39
	s_branch .LBB11_40
.LBB11_38:
                                        ; implicit-def: $vgpr1
.LBB11_39:
	v_add_u32_e32 v1, 3, v0
.LBB11_40:
	s_and_b64 vcc, exec, s[6:7]
	s_cbranch_vccnz .LBB11_42
; %bb.41:
	v_add_u32_e32 v0, 3, v5
	s_cbranch_execz .LBB11_43
	s_branch .LBB11_44
.LBB11_42:
                                        ; implicit-def: $vgpr0
.LBB11_43:
	s_mul_i32 s4, s15, 3
	v_add3_u32 v0, v16, s4, v4
.LBB11_44:
	v_mov_b32_e32 v5, 0
	s_and_b64 vcc, exec, s[8:9]
	v_mov_b32_e32 v6, 0
	s_cbranch_vccnz .LBB11_46
; %bb.45:
	v_add_u32_e32 v1, s21, v1
	v_mov_b32_e32 v2, 0
	v_lshlrev_b64 v[1:2], 2, v[1:2]
	v_mov_b32_e32 v6, s19
	v_add_co_u32_e32 v1, vcc, s18, v1
	v_addc_co_u32_e32 v2, vcc, v6, v2, vcc
	global_load_dword v6, v[1:2], off
.LBB11_46:
	s_and_b64 vcc, exec, s[10:11]
	s_cbranch_vccnz .LBB11_48
; %bb.47:
	v_add_u32_e32 v0, s21, v0
	v_mov_b32_e32 v1, 0
	v_lshlrev_b64 v[0:1], 2, v[0:1]
	v_mov_b32_e32 v2, s25
	v_add_co_u32_e32 v0, vcc, s24, v0
	v_addc_co_u32_e32 v1, vcc, v2, v1, vcc
	global_load_dword v5, v[0:1], off
.LBB11_48:
	s_load_dwordx2 s[4:5], s[26:27], 0x4
	s_waitcnt vmcnt(0)
	v_mul_f32_e32 v0, v3, v15
	v_mul_f32_e32 v1, v3, v18
	;; [unrolled: 1-line block ×4, first 2 shown]
	s_waitcnt lgkmcnt(0)
	s_lshr_b32 s4, s4, 16
	s_mul_i32 s4, s4, s5
	v_mul_lo_u32 v5, s4, v42
	v_fmac_f32_e32 v2, v13, v7
	v_fmac_f32_e32 v0, v13, v14
	;; [unrolled: 1-line block ×3, first 2 shown]
	v_mad_u32_u24 v7, v43, s5, v5
	v_add_lshl_u32 v7, v7, v41, 4
	v_fmac_f32_e32 v3, v13, v6
	v_cmp_ge_u32_e32 vcc, s13, v12
	ds_write_b128 v7, v[0:3]
	s_and_saveexec_b64 s[6:7], vcc
	s_xor_b64 s[6:7], exec, s[6:7]
	s_cbranch_execz .LBB11_50
; %bb.49:
	v_mul_lo_u32 v4, v4, s20
	v_mov_b32_e32 v5, 0
	v_mov_b32_e32 v8, s17
                                        ; implicit-def: $vgpr10
                                        ; implicit-def: $vgpr12
                                        ; implicit-def: $vgpr42
                                        ; implicit-def: $vgpr43
                                        ; implicit-def: $vgpr41
	v_add3_u32 v4, v9, s21, v4
	v_sub_u32_e32 v4, v4, v11
	v_lshlrev_b64 v[6:7], 2, v[4:5]
                                        ; implicit-def: $vgpr9
                                        ; implicit-def: $vgpr11
	v_add_co_u32_e32 v6, vcc, s16, v6
	v_addc_co_u32_e32 v7, vcc, v8, v7, vcc
	global_store_dword v[6:7], v0, off
	v_add_u32_e32 v6, 1, v4
	v_mov_b32_e32 v7, v5
	v_lshlrev_b64 v[6:7], 2, v[6:7]
	v_mov_b32_e32 v0, s17
	v_add_co_u32_e32 v6, vcc, s16, v6
	v_addc_co_u32_e32 v7, vcc, v0, v7, vcc
	global_store_dword v[6:7], v1, off
	v_add_u32_e32 v0, 2, v4
	v_mov_b32_e32 v1, v5
	v_lshlrev_b64 v[0:1], 2, v[0:1]
	v_mov_b32_e32 v6, s17
	v_add_co_u32_e32 v0, vcc, s16, v0
	v_addc_co_u32_e32 v1, vcc, v6, v1, vcc
	v_add_u32_e32 v4, 3, v4
	global_store_dword v[0:1], v2, off
	v_lshlrev_b64 v[0:1], 2, v[4:5]
	v_mov_b32_e32 v2, s17
	v_add_co_u32_e32 v0, vcc, s16, v0
	v_addc_co_u32_e32 v1, vcc, v2, v1, vcc
	global_store_dword v[0:1], v3, off
                                        ; implicit-def: $vgpr8
                                        ; implicit-def: $vgpr5
.LBB11_50:
	s_andn2_saveexec_b64 s[6:7], s[6:7]
	s_cbranch_execz .LBB11_54
; %bb.51:
	v_cmp_gt_u32_e32 vcc, 4, v11
	s_and_b64 exec, exec, vcc
	s_cbranch_execz .LBB11_54
; %bb.52:
	v_lshl_or_b32 v0, s34, 4, v8
	s_lshl_b32 s4, s31, 4
	v_mul_u32_u24_e32 v1, s5, v43
	v_subrev_u32_e32 v0, s4, v0
	v_lshrrev_b32_e32 v4, 4, v42
	v_mul_lo_u32 v0, s20, v0
	v_add3_u32 v1, v1, v41, v4
	v_min_u32_e32 v3, s13, v12
	v_add_lshl_u32 v1, v1, v5, 4
	v_sub_u32_e32 v2, v9, v3
	v_lshl_add_u32 v1, s30, 8, v1
	v_lshlrev_b32_e32 v3, 2, v3
	s_add_i32 s12, s12, s21
	v_sub_u32_e32 v1, v1, v3
	v_add_u32_e32 v2, 3, v2
	v_add3_u32 v0, s12, v0, v10
	v_add_u32_e32 v3, 16, v1
	s_mov_b64 s[6:7], 0
	v_mov_b32_e32 v1, 0
	v_mov_b32_e32 v4, s17
.LBB11_53:                              ; =>This Inner Loop Header: Depth=1
	ds_read_b32 v7, v3
	v_lshlrev_b64 v[5:6], 2, v[0:1]
	v_add_u32_e32 v2, 1, v2
	v_cmp_lt_u32_e32 vcc, 2, v2
	v_add_co_u32_e64 v5, s[4:5], s16, v5
	v_add_u32_e32 v0, 1, v0
	v_add_u32_e32 v3, 4, v3
	v_addc_co_u32_e64 v6, s[4:5], v4, v6, s[4:5]
	s_or_b64 s[6:7], vcc, s[6:7]
	s_waitcnt lgkmcnt(0)
	global_store_dword v[5:6], v7, off
	s_andn2_b64 exec, exec, s[6:7]
	s_cbranch_execnz .LBB11_53
.LBB11_54:
	s_endpgm
	.section	.rodata,"a",@progbits
	.p2align	6, 0x0
	.amdhsa_kernel Transform_S_S_011_16_16_VW_4
		.amdhsa_group_segment_fixed_size 16384
		.amdhsa_private_segment_fixed_size 64
		.amdhsa_kernarg_size 344
		.amdhsa_user_sgpr_count 10
		.amdhsa_user_sgpr_private_segment_buffer 1
		.amdhsa_user_sgpr_dispatch_ptr 1
		.amdhsa_user_sgpr_queue_ptr 0
		.amdhsa_user_sgpr_kernarg_segment_ptr 1
		.amdhsa_user_sgpr_dispatch_id 0
		.amdhsa_user_sgpr_flat_scratch_init 1
		.amdhsa_user_sgpr_private_segment_size 0
		.amdhsa_uses_dynamic_stack 0
		.amdhsa_system_sgpr_private_segment_wavefront_offset 1
		.amdhsa_system_sgpr_workgroup_id_x 1
		.amdhsa_system_sgpr_workgroup_id_y 0
		.amdhsa_system_sgpr_workgroup_id_z 1
		.amdhsa_system_sgpr_workgroup_info 0
		.amdhsa_system_vgpr_workitem_id 2
		.amdhsa_next_free_vgpr 44
		.amdhsa_next_free_sgpr 36
		.amdhsa_reserve_vcc 1
		.amdhsa_reserve_flat_scratch 1
		.amdhsa_float_round_mode_32 0
		.amdhsa_float_round_mode_16_64 0
		.amdhsa_float_denorm_mode_32 3
		.amdhsa_float_denorm_mode_16_64 3
		.amdhsa_dx10_clamp 1
		.amdhsa_ieee_mode 1
		.amdhsa_fp16_overflow 0
		.amdhsa_exception_fp_ieee_invalid_op 0
		.amdhsa_exception_fp_denorm_src 0
		.amdhsa_exception_fp_ieee_div_zero 0
		.amdhsa_exception_fp_ieee_overflow 0
		.amdhsa_exception_fp_ieee_underflow 0
		.amdhsa_exception_fp_ieee_inexact 0
		.amdhsa_exception_int_div_zero 0
	.end_amdhsa_kernel
	.text
.Lfunc_end11:
	.size	Transform_S_S_011_16_16_VW_4, .Lfunc_end11-Transform_S_S_011_16_16_VW_4
                                        ; -- End function
	.set Transform_S_S_011_16_16_VW_4.num_vgpr, max(44, .L__assert_fail.num_vgpr)
	.set Transform_S_S_011_16_16_VW_4.num_agpr, max(0, .L__assert_fail.num_agpr)
	.set Transform_S_S_011_16_16_VW_4.numbered_sgpr, max(36, .L__assert_fail.numbered_sgpr)
	.set Transform_S_S_011_16_16_VW_4.num_named_barrier, max(0, .L__assert_fail.num_named_barrier)
	.set Transform_S_S_011_16_16_VW_4.private_seg_size, 0+max(.L__assert_fail.private_seg_size)
	.set Transform_S_S_011_16_16_VW_4.uses_vcc, or(1, .L__assert_fail.uses_vcc)
	.set Transform_S_S_011_16_16_VW_4.uses_flat_scratch, or(1, .L__assert_fail.uses_flat_scratch)
	.set Transform_S_S_011_16_16_VW_4.has_dyn_sized_stack, or(0, .L__assert_fail.has_dyn_sized_stack)
	.set Transform_S_S_011_16_16_VW_4.has_recursion, or(0, .L__assert_fail.has_recursion)
	.set Transform_S_S_011_16_16_VW_4.has_indirect_call, or(0, .L__assert_fail.has_indirect_call)
	.section	.AMDGPU.csdata,"",@progbits
; Kernel info:
; codeLenInByte = 1680
; TotalNumSgprs: 42
; NumVgprs: 44
; ScratchSize: 64
; MemoryBound: 0
; FloatMode: 240
; IeeeMode: 1
; LDSByteSize: 16384 bytes/workgroup (compile time only)
; SGPRBlocks: 5
; VGPRBlocks: 10
; NumSGPRsForWavesPerEU: 42
; NumVGPRsForWavesPerEU: 44
; Occupancy: 5
; WaveLimiterHint : 1
; COMPUTE_PGM_RSRC2:SCRATCH_EN: 1
; COMPUTE_PGM_RSRC2:USER_SGPR: 10
; COMPUTE_PGM_RSRC2:TRAP_HANDLER: 0
; COMPUTE_PGM_RSRC2:TGID_X_EN: 1
; COMPUTE_PGM_RSRC2:TGID_Y_EN: 0
; COMPUTE_PGM_RSRC2:TGID_Z_EN: 1
; COMPUTE_PGM_RSRC2:TIDIG_COMP_CNT: 2
	.text
	.protected	Transform_S_S_010_16_16_VW_1 ; -- Begin function Transform_S_S_010_16_16_VW_1
	.globl	Transform_S_S_010_16_16_VW_1
	.p2align	8
	.type	Transform_S_S_010_16_16_VW_1,@function
Transform_S_S_010_16_16_VW_1:           ; @Transform_S_S_010_16_16_VW_1
; %bb.0:
	s_mov_b64 s[26:27], s[4:5]
	s_load_dword s4, s[4:5], 0x64
	s_add_u32 flat_scratch_lo, s6, s10
	s_addc_u32 flat_scratch_hi, s7, 0
	s_add_u32 s0, s0, s10
	s_addc_u32 s1, s1, 0
	s_waitcnt lgkmcnt(0)
	s_and_b32 s4, s4, 0xffff
	s_mov_b32 s28, s9
	s_mov_b32 s29, s8
	v_mov_b32_e32 v41, v0
	s_cmpk_eq_i32 s4, 0x100
	s_mov_b64 s[4:5], -1
	s_mov_b32 s32, 0
	s_cbranch_scc1 .LBB12_2
; %bb.1:
	s_add_u32 s8, s26, 0x58
	s_addc_u32 s9, s27, 0
	s_getpc_b64 s[4:5]
	s_add_u32 s4, s4, __PRETTY_FUNCTION__._ZN10amd_detail9transformIffLb0ELb1ELb0ELj16ELj16ELj1EEEvPT_PKS1_S4_T0_PKS5_S5_S7_jjjjjjbb@rel32@lo+4
	s_addc_u32 s5, s5, __PRETTY_FUNCTION__._ZN10amd_detail9transformIffLb0ELb1ELb0ELj16ELj16ELj1EEEvPT_PKS1_S4_T0_PKS5_S5_S7_jjjjjjbb@rel32@hi+12
	s_getpc_b64 s[6:7]
	s_add_u32 s6, s6, __assert_fail@rel32@lo+4
	s_addc_u32 s7, s7, __assert_fail@rel32@hi+12
	v_mov_b32_e32 v0, s4
	v_mov_b32_e32 v1, s5
	s_swappc_b64 s[30:31], s[6:7]
	s_mov_b64 s[4:5], 0
	; divergent unreachable
.LBB12_2:
	s_andn2_b64 vcc, exec, s[4:5]
	s_cbranch_vccnz .LBB12_13
; %bb.3:
	s_load_dwordx8 s[4:11], s[26:27], 0x38
	s_waitcnt lgkmcnt(0)
	s_lshr_b32 s11, s4, 4
	s_and_b32 s12, s4, 15
	s_cmp_lg_u32 s12, 0
	s_cselect_b64 s[12:13], -1, 0
	s_cmp_lg_u64 s[12:13], 0
	s_addc_u32 s11, s11, 0
	v_cvt_f32_u32_e32 v0, s11
	s_load_dword s15, s[26:27], 0x18
	s_load_dwordx2 s[12:13], s[26:27], 0x20
	s_sub_i32 s14, 0, s11
	v_rcp_iflag_f32_e32 v0, v0
	v_mul_f32_e32 v0, 0x4f7ffffe, v0
	v_cvt_u32_f32_e32 v0, v0
	v_readfirstlane_b32 s16, v0
	s_mul_i32 s14, s14, s16
	s_mul_hi_u32 s14, s16, s14
	s_add_i32 s16, s16, s14
	s_mul_hi_u32 s14, s29, s16
	s_waitcnt lgkmcnt(0)
	s_cmp_eq_u64 s[12:13], 0
	v_mov_b32_e32 v0, s15
	s_cbranch_scc1 .LBB12_5
; %bb.4:
	v_mov_b32_e32 v0, 0
	global_load_dword v0, v0, s[12:13]
.LBB12_5:
	s_load_dwordx2 s[12:13], s[26:27], 0x30
	s_load_dword s15, s[26:27], 0x28
	s_waitcnt lgkmcnt(0)
	s_cmp_eq_u64 s[12:13], 0
	v_mov_b32_e32 v1, s15
	s_cbranch_scc1 .LBB12_7
; %bb.6:
	v_mov_b32_e32 v1, 0
	global_load_dword v1, v1, s[12:13]
.LBB12_7:
	s_mul_i32 s12, s14, s11
	s_sub_i32 s12, s29, s12
	s_add_i32 s13, s14, 1
	s_sub_i32 s15, s12, s11
	s_cmp_ge_u32 s12, s11
	s_cselect_b32 s13, s13, s14
	s_cselect_b32 s12, s15, s12
	s_add_i32 s14, s13, 1
	s_cmp_ge_u32 s12, s11
	s_cselect_b32 s12, s14, s13
	s_mul_i32 s11, s12, s11
	s_sub_i32 s11, s29, s11
	v_and_b32_e32 v2, 15, v41
	v_lshrrev_b32_e32 v3, 4, v41
	v_lshl_or_b32 v2, s11, 4, v2
	v_lshl_add_u32 v3, s12, 4, v3
	v_cmp_gt_u32_e32 vcc, s4, v2
	v_cmp_gt_u32_e64 s[4:5], s5, v3
	s_and_b64 s[4:5], vcc, s[4:5]
	s_and_saveexec_b64 s[12:13], s[4:5]
	s_cbranch_execz .LBB12_13
; %bb.8:
	s_load_dwordx4 s[12:15], s[26:27], 0x0
	s_load_dwordx2 s[4:5], s[26:27], 0x10
	s_mul_i32 s9, s9, s28
	v_mov_b32_e32 v5, 0
	v_mov_b32_e32 v4, 0
	s_waitcnt lgkmcnt(0)
	s_cmp_eq_u64 s[14:15], 0
	s_cbranch_scc1 .LBB12_10
; %bb.9:
	s_bitcmp1_b32 s10, 0
	s_cselect_b64 vcc, -1, 0
	v_cndmask_b32_e32 v4, v3, v2, vcc
	v_mul_lo_u32 v4, v4, s6
	v_cndmask_b32_e32 v6, v2, v3, vcc
	v_mov_b32_e32 v7, 0
	v_add3_u32 v6, v6, s9, v4
	v_lshlrev_b64 v[6:7], 2, v[6:7]
	v_mov_b32_e32 v4, s15
	v_add_co_u32_e32 v6, vcc, s14, v6
	v_addc_co_u32_e32 v7, vcc, v4, v7, vcc
	global_load_dword v4, v[6:7], off
.LBB12_10:
	s_cmp_eq_u64 s[4:5], 0
	s_cbranch_scc1 .LBB12_12
; %bb.11:
	s_load_dword s6, s[26:27], 0x50
	v_mov_b32_e32 v6, 0
	v_mov_b32_e32 v7, s5
	s_waitcnt lgkmcnt(0)
	s_bitcmp1_b32 s6, 8
	s_cselect_b64 vcc, -1, 0
	v_cndmask_b32_e32 v5, v2, v3, vcc
	v_mul_lo_u32 v5, v5, s7
	v_cndmask_b32_e32 v8, v3, v2, vcc
	v_add3_u32 v5, v8, s9, v5
	v_lshlrev_b64 v[5:6], 2, v[5:6]
	v_add_co_u32_e32 v5, vcc, s4, v5
	v_addc_co_u32_e32 v6, vcc, v7, v6, vcc
	global_load_dword v5, v[5:6], off
.LBB12_12:
	v_mul_lo_u32 v3, v3, s8
	s_waitcnt vmcnt(0)
	v_mul_f32_e32 v5, v1, v5
	v_mov_b32_e32 v1, 0
	v_fmac_f32_e32 v5, v0, v4
	v_add3_u32 v0, v2, s9, v3
	v_lshlrev_b64 v[0:1], 2, v[0:1]
	v_mov_b32_e32 v2, s13
	v_add_co_u32_e32 v0, vcc, s12, v0
	v_addc_co_u32_e32 v1, vcc, v2, v1, vcc
	global_store_dword v[0:1], v5, off
.LBB12_13:
	s_endpgm
	.section	.rodata,"a",@progbits
	.p2align	6, 0x0
	.amdhsa_kernel Transform_S_S_010_16_16_VW_1
		.amdhsa_group_segment_fixed_size 0
		.amdhsa_private_segment_fixed_size 64
		.amdhsa_kernarg_size 344
		.amdhsa_user_sgpr_count 8
		.amdhsa_user_sgpr_private_segment_buffer 1
		.amdhsa_user_sgpr_dispatch_ptr 0
		.amdhsa_user_sgpr_queue_ptr 0
		.amdhsa_user_sgpr_kernarg_segment_ptr 1
		.amdhsa_user_sgpr_dispatch_id 0
		.amdhsa_user_sgpr_flat_scratch_init 1
		.amdhsa_user_sgpr_private_segment_size 0
		.amdhsa_uses_dynamic_stack 0
		.amdhsa_system_sgpr_private_segment_wavefront_offset 1
		.amdhsa_system_sgpr_workgroup_id_x 1
		.amdhsa_system_sgpr_workgroup_id_y 0
		.amdhsa_system_sgpr_workgroup_id_z 1
		.amdhsa_system_sgpr_workgroup_info 0
		.amdhsa_system_vgpr_workitem_id 0
		.amdhsa_next_free_vgpr 42
		.amdhsa_next_free_sgpr 34
		.amdhsa_reserve_vcc 1
		.amdhsa_reserve_flat_scratch 1
		.amdhsa_float_round_mode_32 0
		.amdhsa_float_round_mode_16_64 0
		.amdhsa_float_denorm_mode_32 3
		.amdhsa_float_denorm_mode_16_64 3
		.amdhsa_dx10_clamp 1
		.amdhsa_ieee_mode 1
		.amdhsa_fp16_overflow 0
		.amdhsa_exception_fp_ieee_invalid_op 0
		.amdhsa_exception_fp_denorm_src 0
		.amdhsa_exception_fp_ieee_div_zero 0
		.amdhsa_exception_fp_ieee_overflow 0
		.amdhsa_exception_fp_ieee_underflow 0
		.amdhsa_exception_fp_ieee_inexact 0
		.amdhsa_exception_int_div_zero 0
	.end_amdhsa_kernel
	.text
.Lfunc_end12:
	.size	Transform_S_S_010_16_16_VW_1, .Lfunc_end12-Transform_S_S_010_16_16_VW_1
                                        ; -- End function
	.set Transform_S_S_010_16_16_VW_1.num_vgpr, max(42, .L__assert_fail.num_vgpr)
	.set Transform_S_S_010_16_16_VW_1.num_agpr, max(0, .L__assert_fail.num_agpr)
	.set Transform_S_S_010_16_16_VW_1.numbered_sgpr, max(33, .L__assert_fail.numbered_sgpr)
	.set Transform_S_S_010_16_16_VW_1.num_named_barrier, max(0, .L__assert_fail.num_named_barrier)
	.set Transform_S_S_010_16_16_VW_1.private_seg_size, 0+max(.L__assert_fail.private_seg_size)
	.set Transform_S_S_010_16_16_VW_1.uses_vcc, or(1, .L__assert_fail.uses_vcc)
	.set Transform_S_S_010_16_16_VW_1.uses_flat_scratch, or(1, .L__assert_fail.uses_flat_scratch)
	.set Transform_S_S_010_16_16_VW_1.has_dyn_sized_stack, or(0, .L__assert_fail.has_dyn_sized_stack)
	.set Transform_S_S_010_16_16_VW_1.has_recursion, or(0, .L__assert_fail.has_recursion)
	.set Transform_S_S_010_16_16_VW_1.has_indirect_call, or(0, .L__assert_fail.has_indirect_call)
	.section	.AMDGPU.csdata,"",@progbits
; Kernel info:
; codeLenInByte = 660
; TotalNumSgprs: 40
; NumVgprs: 42
; ScratchSize: 64
; MemoryBound: 0
; FloatMode: 240
; IeeeMode: 1
; LDSByteSize: 0 bytes/workgroup (compile time only)
; SGPRBlocks: 4
; VGPRBlocks: 10
; NumSGPRsForWavesPerEU: 40
; NumVGPRsForWavesPerEU: 42
; Occupancy: 5
; WaveLimiterHint : 1
; COMPUTE_PGM_RSRC2:SCRATCH_EN: 1
; COMPUTE_PGM_RSRC2:USER_SGPR: 8
; COMPUTE_PGM_RSRC2:TRAP_HANDLER: 0
; COMPUTE_PGM_RSRC2:TGID_X_EN: 1
; COMPUTE_PGM_RSRC2:TGID_Y_EN: 0
; COMPUTE_PGM_RSRC2:TGID_Z_EN: 1
; COMPUTE_PGM_RSRC2:TIDIG_COMP_CNT: 0
	.text
	.protected	Transform_S_S_010_16_16_VW_4 ; -- Begin function Transform_S_S_010_16_16_VW_4
	.globl	Transform_S_S_010_16_16_VW_4
	.p2align	8
	.type	Transform_S_S_010_16_16_VW_4,@function
Transform_S_S_010_16_16_VW_4:           ; @Transform_S_S_010_16_16_VW_4
; %bb.0:
	s_mov_b64 s[26:27], s[4:5]
	s_load_dword s4, s[6:7], 0x64
	s_add_u32 flat_scratch_lo, s8, s12
	s_addc_u32 flat_scratch_hi, s9, 0
	s_add_u32 s0, s0, s12
	s_addc_u32 s1, s1, 0
	s_waitcnt lgkmcnt(0)
	s_and_b32 s4, s4, 0xffff
	s_mov_b32 s35, s11
	s_mov_b32 s34, s10
	s_mov_b64 s[28:29], s[6:7]
	v_mov_b32_e32 v41, v2
	v_mov_b32_e32 v43, v1
	;; [unrolled: 1-line block ×3, first 2 shown]
	s_cmpk_eq_i32 s4, 0x100
	s_mov_b64 s[4:5], -1
	s_mov_b32 s32, 0
	s_cbranch_scc1 .LBB13_2
; %bb.1:
	s_add_u32 s8, s28, 0x58
	s_addc_u32 s9, s29, 0
	s_getpc_b64 s[4:5]
	s_add_u32 s4, s4, __PRETTY_FUNCTION__._ZN10amd_detail9transformIffLb0ELb1ELb0ELj16ELj16ELj4EEEvPT_PKS1_S4_T0_PKS5_S5_S7_jjjjjjbb@rel32@lo+4
	s_addc_u32 s5, s5, __PRETTY_FUNCTION__._ZN10amd_detail9transformIffLb0ELb1ELb0ELj16ELj16ELj4EEEvPT_PKS1_S4_T0_PKS5_S5_S7_jjjjjjbb@rel32@hi+12
	s_getpc_b64 s[6:7]
	s_add_u32 s6, s6, __assert_fail@rel32@lo+4
	s_addc_u32 s7, s7, __assert_fail@rel32@hi+12
	v_mov_b32_e32 v0, s4
	v_mov_b32_e32 v1, s5
	s_swappc_b64 s[30:31], s[6:7]
	s_mov_b64 s[4:5], 0
	; divergent unreachable
.LBB13_2:
	s_andn2_b64 vcc, exec, s[4:5]
	s_cbranch_vccnz .LBB13_54
; %bb.3:
	s_load_dwordx8 s[12:19], s[28:29], 0x38
	s_waitcnt lgkmcnt(0)
	s_lshr_b32 s6, s12, 6
	s_and_b32 s4, s12, 63
	s_cmp_lg_u32 s4, 0
	s_cselect_b64 s[4:5], -1, 0
	s_cmp_lg_u64 s[4:5], 0
	s_addc_u32 s6, s6, 0
	v_cvt_f32_u32_e32 v0, s6
	s_load_dword s8, s[28:29], 0x18
	s_load_dwordx2 s[4:5], s[28:29], 0x20
	s_sub_i32 s7, 0, s6
	v_rcp_iflag_f32_e32 v0, v0
	s_waitcnt lgkmcnt(0)
	v_mov_b32_e32 v8, s8
	v_mul_f32_e32 v0, 0x4f7ffffe, v0
	v_cvt_u32_f32_e32 v0, v0
	v_readfirstlane_b32 s9, v0
	s_mul_i32 s7, s7, s9
	s_mul_hi_u32 s7, s9, s7
	s_add_i32 s9, s9, s7
	s_mul_hi_u32 s7, s34, s9
	s_cmp_eq_u64 s[4:5], 0
	s_cbranch_scc1 .LBB13_5
; %bb.4:
	v_mov_b32_e32 v0, 0
	global_load_dword v8, v0, s[4:5]
.LBB13_5:
	s_load_dwordx2 s[4:5], s[28:29], 0x30
	s_load_dword s8, s[28:29], 0x28
	s_waitcnt lgkmcnt(0)
	s_cmp_eq_u64 s[4:5], 0
	v_mov_b32_e32 v12, s8
	s_cbranch_scc1 .LBB13_7
; %bb.6:
	v_mov_b32_e32 v0, 0
	global_load_dword v12, v0, s[4:5]
.LBB13_7:
	s_mul_i32 s4, s7, s6
	s_sub_i32 s4, s34, s4
	s_add_i32 s5, s7, 1
	s_sub_i32 s8, s4, s6
	s_cmp_ge_u32 s4, s6
	s_cselect_b32 s5, s5, s7
	s_cselect_b32 s4, s8, s4
	s_add_i32 s7, s5, 1
	s_cmp_ge_u32 s4, s6
	s_cselect_b32 s4, s7, s5
	v_lshrrev_b32_e32 v0, 4, v42
	v_lshl_add_u32 v4, s4, 4, v0
	v_cmp_gt_u32_e32 vcc, s13, v4
	s_and_saveexec_b64 s[8:9], vcc
	s_cbranch_execz .LBB13_54
; %bb.8:
	s_mul_i32 s13, s4, s6
	v_lshlrev_b32_e32 v0, 2, v42
	s_sub_i32 s4, s34, s13
	v_and_b32_e32 v9, 60, v0
	v_lshl_or_b32 v11, s4, 6, v9
	v_add_u32_e32 v13, 4, v11
	s_load_dwordx4 s[20:23], s[28:29], 0x0
	s_load_dwordx2 s[24:25], s[28:29], 0x10
	v_sub_u32_e64 v10, v13, s12 clamp
	v_sub_u32_e32 v0, v11, v10
	v_mad_u64_u32 v[5:6], s[4:5], v4, s14, v[0:1]
	s_bitcmp1_b32 s18, 0
	s_cselect_b64 vcc, -1, 0
	s_waitcnt lgkmcnt(0)
	s_cmp_lg_u64 s[22:23], 0
	s_mul_i32 s17, s17, s35
	s_cselect_b64 s[10:11], -1, 0
	s_cmp_eq_u64 s[22:23], 0
	v_mov_b32_e32 v15, 0
	v_mov_b32_e32 v14, 0
	s_cbranch_scc1 .LBB13_10
; %bb.9:
	v_mad_u64_u32 v[1:2], s[4:5], v0, s14, v[4:5]
	v_mov_b32_e32 v2, 0
	v_mov_b32_e32 v3, s23
	v_cndmask_b32_e32 v1, v5, v1, vcc
	v_add_u32_e32 v1, s17, v1
	v_lshlrev_b64 v[1:2], 2, v[1:2]
	v_add_co_u32_e64 v1, s[4:5], s22, v1
	v_addc_co_u32_e64 v2, s[4:5], v3, v2, s[4:5]
	global_load_dword v14, v[1:2], off
.LBB13_10:
	s_load_dword s6, s[28:29], 0x50
	s_xor_b64 s[8:9], vcc, -1
	v_mad_u64_u32 v[1:2], s[4:5], v4, s15, v[0:1]
	s_waitcnt lgkmcnt(0)
	s_bitcmp1_b32 s6, 8
	s_cselect_b64 s[6:7], -1, 0
	s_cmp_lg_u64 s[24:25], 0
	s_cselect_b64 s[18:19], -1, 0
	s_cmp_eq_u64 s[24:25], 0
	s_cbranch_scc1 .LBB13_12
; %bb.11:
	v_mad_u64_u32 v[2:3], s[4:5], v0, s15, v[4:5]
	v_mov_b32_e32 v3, 0
	v_mov_b32_e32 v6, s25
	v_cndmask_b32_e64 v2, v2, v1, s[6:7]
	v_add_u32_e32 v2, s17, v2
	v_lshlrev_b64 v[2:3], 2, v[2:3]
	v_add_co_u32_e32 v2, vcc, s24, v2
	v_addc_co_u32_e32 v3, vcc, v6, v3, vcc
	global_load_dword v15, v[2:3], off
.LBB13_12:
	v_cndmask_b32_e64 v2, 0, 1, s[8:9]
	v_cmp_ne_u32_e64 s[4:5], 1, v2
	s_andn2_b64 vcc, exec, s[8:9]
	s_cbranch_vccnz .LBB13_14
; %bb.13:
	v_add_u32_e32 v2, 1, v5
	s_xor_b64 s[8:9], s[6:7], -1
	s_cbranch_execz .LBB13_15
	s_branch .LBB13_16
.LBB13_14:
                                        ; implicit-def: $vgpr2
	s_xor_b64 s[8:9], s[6:7], -1
.LBB13_15:
	v_mul_lo_u32 v2, s14, v0
	v_add3_u32 v2, v2, s14, v4
.LBB13_16:
	v_cndmask_b32_e64 v3, 0, 1, s[8:9]
	v_cmp_ne_u32_e64 s[6:7], 1, v3
	s_andn2_b64 vcc, exec, s[8:9]
	s_cbranch_vccnz .LBB13_18
; %bb.17:
	v_mul_lo_u32 v3, s15, v0
	v_add3_u32 v3, v3, s15, v4
	s_cbranch_execz .LBB13_19
	s_branch .LBB13_20
.LBB13_18:
                                        ; implicit-def: $vgpr3
.LBB13_19:
	v_add_u32_e32 v3, 1, v1
.LBB13_20:
	v_cndmask_b32_e64 v6, 0, 1, s[10:11]
	v_mov_b32_e32 v17, 0
	v_cmp_ne_u32_e64 s[8:9], 1, v6
	s_andn2_b64 vcc, exec, s[10:11]
	v_mov_b32_e32 v16, 0
	s_cbranch_vccnz .LBB13_22
; %bb.21:
	v_add_u32_e32 v6, s17, v2
	v_mov_b32_e32 v7, 0
	v_lshlrev_b64 v[6:7], 2, v[6:7]
	v_mov_b32_e32 v2, s23
	v_add_co_u32_e32 v6, vcc, s22, v6
	v_addc_co_u32_e32 v7, vcc, v2, v7, vcc
	global_load_dword v16, v[6:7], off
.LBB13_22:
	v_cndmask_b32_e64 v2, 0, 1, s[18:19]
	v_cmp_ne_u32_e64 s[10:11], 1, v2
	s_andn2_b64 vcc, exec, s[18:19]
	s_cbranch_vccnz .LBB13_24
; %bb.23:
	v_add_u32_e32 v2, s17, v3
	v_mov_b32_e32 v3, 0
	v_lshlrev_b64 v[2:3], 2, v[2:3]
	v_mov_b32_e32 v6, s25
	v_add_co_u32_e32 v2, vcc, s24, v2
	v_addc_co_u32_e32 v3, vcc, v6, v3, vcc
	global_load_dword v17, v[2:3], off
.LBB13_24:
	s_and_b64 vcc, exec, s[4:5]
	s_cbranch_vccnz .LBB13_26
; %bb.25:
	v_add_u32_e32 v2, 2, v5
	v_add_u32_e32 v6, 2, v0
	s_cbranch_execz .LBB13_27
	s_branch .LBB13_28
.LBB13_26:
                                        ; implicit-def: $vgpr2
	v_add_u32_e32 v6, 2, v0
.LBB13_27:
	v_mad_u64_u32 v[2:3], s[18:19], v6, s14, v[4:5]
.LBB13_28:
	s_and_b64 vcc, exec, s[6:7]
	s_cbranch_vccnz .LBB13_30
; %bb.29:
	v_mad_u64_u32 v[6:7], s[18:19], v6, s15, v[4:5]
	s_cbranch_execz .LBB13_31
	s_branch .LBB13_32
.LBB13_30:
                                        ; implicit-def: $vgpr6
.LBB13_31:
	v_add_u32_e32 v6, 2, v1
.LBB13_32:
	v_mov_b32_e32 v18, 0
	s_and_b64 vcc, exec, s[8:9]
	v_mov_b32_e32 v7, 0
	s_cbranch_vccnz .LBB13_34
; %bb.33:
	v_add_u32_e32 v2, s17, v2
	v_mov_b32_e32 v3, 0
	v_lshlrev_b64 v[2:3], 2, v[2:3]
	v_mov_b32_e32 v7, s23
	v_add_co_u32_e32 v2, vcc, s22, v2
	v_addc_co_u32_e32 v3, vcc, v7, v3, vcc
	global_load_dword v7, v[2:3], off
.LBB13_34:
	s_and_b64 vcc, exec, s[10:11]
	s_cbranch_vccnz .LBB13_36
; %bb.35:
	v_add_u32_e32 v2, s17, v6
	v_mov_b32_e32 v3, 0
	v_lshlrev_b64 v[2:3], 2, v[2:3]
	v_mov_b32_e32 v6, s25
	v_add_co_u32_e32 v2, vcc, s24, v2
	v_addc_co_u32_e32 v3, vcc, v6, v3, vcc
	global_load_dword v18, v[2:3], off
.LBB13_36:
	s_and_b64 vcc, exec, s[4:5]
	s_cbranch_vccnz .LBB13_38
; %bb.37:
	v_add_u32_e32 v2, 3, v5
	v_add_u32_e32 v0, 3, v0
	s_cbranch_execz .LBB13_39
	s_branch .LBB13_40
.LBB13_38:
                                        ; implicit-def: $vgpr2
	v_add_u32_e32 v0, 3, v0
.LBB13_39:
	v_mad_u64_u32 v[2:3], s[4:5], v0, s14, v[4:5]
.LBB13_40:
	s_and_b64 vcc, exec, s[6:7]
	s_cbranch_vccnz .LBB13_42
; %bb.41:
	v_mad_u64_u32 v[5:6], s[4:5], v0, s15, v[4:5]
	s_cbranch_execz .LBB13_43
	s_branch .LBB13_44
.LBB13_42:
                                        ; implicit-def: $vgpr5
.LBB13_43:
	v_add_u32_e32 v5, 3, v1
.LBB13_44:
	v_mov_b32_e32 v3, 0
	s_and_b64 vcc, exec, s[8:9]
	v_mov_b32_e32 v6, 0
	s_cbranch_vccnz .LBB13_46
; %bb.45:
	v_add_u32_e32 v0, s17, v2
	v_mov_b32_e32 v1, 0
	v_lshlrev_b64 v[0:1], 2, v[0:1]
	v_mov_b32_e32 v2, s23
	v_add_co_u32_e32 v0, vcc, s22, v0
	v_addc_co_u32_e32 v1, vcc, v2, v1, vcc
	global_load_dword v6, v[0:1], off
.LBB13_46:
	s_and_b64 vcc, exec, s[10:11]
	s_cbranch_vccnz .LBB13_48
; %bb.47:
	v_add_u32_e32 v0, s17, v5
	v_mov_b32_e32 v1, 0
	v_lshlrev_b64 v[0:1], 2, v[0:1]
	v_mov_b32_e32 v2, s25
	v_add_co_u32_e32 v0, vcc, s24, v0
	v_addc_co_u32_e32 v1, vcc, v2, v1, vcc
	global_load_dword v3, v[0:1], off
.LBB13_48:
	s_load_dwordx2 s[4:5], s[26:27], 0x4
	v_mul_lo_u32 v4, v4, s16
	s_waitcnt vmcnt(0)
	v_mul_f32_e32 v2, v12, v18
	v_mul_f32_e32 v0, v12, v15
	;; [unrolled: 1-line block ×3, first 2 shown]
	s_waitcnt lgkmcnt(0)
	s_lshr_b32 s4, s4, 16
	s_mul_i32 s4, s4, s5
	v_mul_lo_u32 v5, s4, v42
	v_mul_f32_e32 v3, v12, v3
	v_fmac_f32_e32 v2, v8, v7
	v_fmac_f32_e32 v0, v8, v14
	v_mad_u32_u24 v7, v43, s5, v5
	v_fmac_f32_e32 v1, v8, v16
	v_add_lshl_u32 v7, v7, v41, 4
	v_fmac_f32_e32 v3, v8, v6
	v_cmp_ge_u32_e32 vcc, s12, v13
	ds_write_b128 v7, v[0:3]
	s_and_saveexec_b64 s[6:7], vcc
	s_xor_b64 s[6:7], exec, s[6:7]
	s_cbranch_execz .LBB13_50
; %bb.49:
	v_add_u32_e32 v5, s17, v11
	v_sub_u32_e32 v5, v5, v10
	v_add_u32_e32 v4, v5, v4
	v_mov_b32_e32 v5, 0
	v_lshlrev_b64 v[6:7], 2, v[4:5]
	v_mov_b32_e32 v8, s21
	v_add_co_u32_e32 v6, vcc, s20, v6
	v_addc_co_u32_e32 v7, vcc, v8, v7, vcc
	global_store_dword v[6:7], v0, off
	v_add_u32_e32 v6, 1, v4
	v_mov_b32_e32 v7, v5
	v_lshlrev_b64 v[6:7], 2, v[6:7]
	v_mov_b32_e32 v0, s21
	v_add_co_u32_e32 v6, vcc, s20, v6
	v_addc_co_u32_e32 v7, vcc, v0, v7, vcc
	global_store_dword v[6:7], v1, off
	v_add_u32_e32 v0, 2, v4
	v_mov_b32_e32 v1, v5
	v_lshlrev_b64 v[0:1], 2, v[0:1]
	v_mov_b32_e32 v6, s21
	v_add_co_u32_e32 v0, vcc, s20, v0
	v_addc_co_u32_e32 v1, vcc, v6, v1, vcc
	v_add_u32_e32 v4, 3, v4
	global_store_dword v[0:1], v2, off
	v_lshlrev_b64 v[0:1], 2, v[4:5]
	v_mov_b32_e32 v2, s21
	v_add_co_u32_e32 v0, vcc, s20, v0
	v_addc_co_u32_e32 v1, vcc, v2, v1, vcc
	global_store_dword v[0:1], v3, off
                                        ; implicit-def: $vgpr10
                                        ; implicit-def: $vgpr43
                                        ; implicit-def: $vgpr9
                                        ; implicit-def: $vgpr4
                                        ; implicit-def: $vgpr41
                                        ; implicit-def: $vgpr5
                                        ; implicit-def: $vgpr42
.LBB13_50:
	s_andn2_saveexec_b64 s[6:7], s[6:7]
	s_cbranch_execz .LBB13_54
; %bb.51:
	v_cmp_gt_u32_e32 vcc, 4, v10
	s_and_b64 exec, exec, vcc
	s_cbranch_execz .LBB13_54
; %bb.52:
	v_mul_u32_u24_e32 v1, s5, v43
	v_lshl_or_b32 v0, s34, 6, v9
	s_lshl_b32 s4, s13, 6
	v_subrev_u32_e32 v2, s4, v0
	v_add3_u32 v0, s17, v4, v0
	v_add3_u32 v1, v1, v41, v5
	v_and_b32_e32 v4, 15, v42
	v_add_u32_e32 v3, 4, v2
	v_add_lshl_u32 v1, v1, v4, 4
	v_min_u32_e32 v3, s12, v3
	v_subrev_u32_e32 v0, s4, v0
	v_lshl_add_u32 v1, s34, 8, v1
	s_lshl_b32 s4, s13, 8
	v_sub_u32_e32 v2, v2, v3
	v_subrev_u32_e32 v1, s4, v1
	v_lshlrev_b32_e32 v3, 2, v3
	v_sub_u32_e32 v1, v1, v3
	v_add_u32_e32 v2, 3, v2
	v_add_u32_e32 v3, 16, v1
	s_mov_b64 s[6:7], 0
	v_mov_b32_e32 v1, 0
	v_mov_b32_e32 v4, s21
.LBB13_53:                              ; =>This Inner Loop Header: Depth=1
	ds_read_b32 v7, v3
	v_lshlrev_b64 v[5:6], 2, v[0:1]
	v_add_u32_e32 v2, 1, v2
	v_cmp_lt_u32_e32 vcc, 2, v2
	v_add_co_u32_e64 v5, s[4:5], s20, v5
	v_add_u32_e32 v0, 1, v0
	v_add_u32_e32 v3, 4, v3
	v_addc_co_u32_e64 v6, s[4:5], v4, v6, s[4:5]
	s_or_b64 s[6:7], vcc, s[6:7]
	s_waitcnt lgkmcnt(0)
	global_store_dword v[5:6], v7, off
	s_andn2_b64 exec, exec, s[6:7]
	s_cbranch_execnz .LBB13_53
.LBB13_54:
	s_endpgm
	.section	.rodata,"a",@progbits
	.p2align	6, 0x0
	.amdhsa_kernel Transform_S_S_010_16_16_VW_4
		.amdhsa_group_segment_fixed_size 16384
		.amdhsa_private_segment_fixed_size 64
		.amdhsa_kernarg_size 344
		.amdhsa_user_sgpr_count 10
		.amdhsa_user_sgpr_private_segment_buffer 1
		.amdhsa_user_sgpr_dispatch_ptr 1
		.amdhsa_user_sgpr_queue_ptr 0
		.amdhsa_user_sgpr_kernarg_segment_ptr 1
		.amdhsa_user_sgpr_dispatch_id 0
		.amdhsa_user_sgpr_flat_scratch_init 1
		.amdhsa_user_sgpr_private_segment_size 0
		.amdhsa_uses_dynamic_stack 0
		.amdhsa_system_sgpr_private_segment_wavefront_offset 1
		.amdhsa_system_sgpr_workgroup_id_x 1
		.amdhsa_system_sgpr_workgroup_id_y 0
		.amdhsa_system_sgpr_workgroup_id_z 1
		.amdhsa_system_sgpr_workgroup_info 0
		.amdhsa_system_vgpr_workitem_id 2
		.amdhsa_next_free_vgpr 44
		.amdhsa_next_free_sgpr 36
		.amdhsa_reserve_vcc 1
		.amdhsa_reserve_flat_scratch 1
		.amdhsa_float_round_mode_32 0
		.amdhsa_float_round_mode_16_64 0
		.amdhsa_float_denorm_mode_32 3
		.amdhsa_float_denorm_mode_16_64 3
		.amdhsa_dx10_clamp 1
		.amdhsa_ieee_mode 1
		.amdhsa_fp16_overflow 0
		.amdhsa_exception_fp_ieee_invalid_op 0
		.amdhsa_exception_fp_denorm_src 0
		.amdhsa_exception_fp_ieee_div_zero 0
		.amdhsa_exception_fp_ieee_overflow 0
		.amdhsa_exception_fp_ieee_underflow 0
		.amdhsa_exception_fp_ieee_inexact 0
		.amdhsa_exception_int_div_zero 0
	.end_amdhsa_kernel
	.text
.Lfunc_end13:
	.size	Transform_S_S_010_16_16_VW_4, .Lfunc_end13-Transform_S_S_010_16_16_VW_4
                                        ; -- End function
	.set Transform_S_S_010_16_16_VW_4.num_vgpr, max(44, .L__assert_fail.num_vgpr)
	.set Transform_S_S_010_16_16_VW_4.num_agpr, max(0, .L__assert_fail.num_agpr)
	.set Transform_S_S_010_16_16_VW_4.numbered_sgpr, max(36, .L__assert_fail.numbered_sgpr)
	.set Transform_S_S_010_16_16_VW_4.num_named_barrier, max(0, .L__assert_fail.num_named_barrier)
	.set Transform_S_S_010_16_16_VW_4.private_seg_size, 0+max(.L__assert_fail.private_seg_size)
	.set Transform_S_S_010_16_16_VW_4.uses_vcc, or(1, .L__assert_fail.uses_vcc)
	.set Transform_S_S_010_16_16_VW_4.uses_flat_scratch, or(1, .L__assert_fail.uses_flat_scratch)
	.set Transform_S_S_010_16_16_VW_4.has_dyn_sized_stack, or(0, .L__assert_fail.has_dyn_sized_stack)
	.set Transform_S_S_010_16_16_VW_4.has_recursion, or(0, .L__assert_fail.has_recursion)
	.set Transform_S_S_010_16_16_VW_4.has_indirect_call, or(0, .L__assert_fail.has_indirect_call)
	.section	.AMDGPU.csdata,"",@progbits
; Kernel info:
; codeLenInByte = 1672
; TotalNumSgprs: 42
; NumVgprs: 44
; ScratchSize: 64
; MemoryBound: 0
; FloatMode: 240
; IeeeMode: 1
; LDSByteSize: 16384 bytes/workgroup (compile time only)
; SGPRBlocks: 5
; VGPRBlocks: 10
; NumSGPRsForWavesPerEU: 42
; NumVGPRsForWavesPerEU: 44
; Occupancy: 5
; WaveLimiterHint : 1
; COMPUTE_PGM_RSRC2:SCRATCH_EN: 1
; COMPUTE_PGM_RSRC2:USER_SGPR: 10
; COMPUTE_PGM_RSRC2:TRAP_HANDLER: 0
; COMPUTE_PGM_RSRC2:TGID_X_EN: 1
; COMPUTE_PGM_RSRC2:TGID_Y_EN: 0
; COMPUTE_PGM_RSRC2:TGID_Z_EN: 1
; COMPUTE_PGM_RSRC2:TIDIG_COMP_CNT: 2
	.text
	.protected	Transform_S_S_001_16_16_VW_1 ; -- Begin function Transform_S_S_001_16_16_VW_1
	.globl	Transform_S_S_001_16_16_VW_1
	.p2align	8
	.type	Transform_S_S_001_16_16_VW_1,@function
Transform_S_S_001_16_16_VW_1:           ; @Transform_S_S_001_16_16_VW_1
; %bb.0:
	s_mov_b64 s[26:27], s[4:5]
	s_load_dword s4, s[4:5], 0x64
	s_add_u32 flat_scratch_lo, s6, s10
	s_addc_u32 flat_scratch_hi, s7, 0
	s_add_u32 s0, s0, s10
	s_addc_u32 s1, s1, 0
	s_waitcnt lgkmcnt(0)
	s_and_b32 s4, s4, 0xffff
	s_mov_b32 s28, s9
	s_mov_b32 s29, s8
	v_mov_b32_e32 v41, v0
	s_cmpk_eq_i32 s4, 0x100
	s_mov_b64 s[4:5], -1
	s_mov_b32 s32, 0
	s_cbranch_scc1 .LBB14_2
; %bb.1:
	s_add_u32 s8, s26, 0x58
	s_addc_u32 s9, s27, 0
	s_getpc_b64 s[4:5]
	s_add_u32 s4, s4, __PRETTY_FUNCTION__._ZN10amd_detail9transformIffLb0ELb0ELb1ELj16ELj16ELj1EEEvPT_PKS1_S4_T0_PKS5_S5_S7_jjjjjjbb@rel32@lo+4
	s_addc_u32 s5, s5, __PRETTY_FUNCTION__._ZN10amd_detail9transformIffLb0ELb0ELb1ELj16ELj16ELj1EEEvPT_PKS1_S4_T0_PKS5_S5_S7_jjjjjjbb@rel32@hi+12
	s_getpc_b64 s[6:7]
	s_add_u32 s6, s6, __assert_fail@rel32@lo+4
	s_addc_u32 s7, s7, __assert_fail@rel32@hi+12
	v_mov_b32_e32 v0, s4
	v_mov_b32_e32 v1, s5
	s_swappc_b64 s[30:31], s[6:7]
	s_mov_b64 s[4:5], 0
	; divergent unreachable
.LBB14_2:
	s_andn2_b64 vcc, exec, s[4:5]
	s_cbranch_vccnz .LBB14_13
; %bb.3:
	s_load_dwordx8 s[4:11], s[26:27], 0x38
	s_waitcnt lgkmcnt(0)
	s_lshr_b32 s11, s4, 4
	s_and_b32 s12, s4, 15
	s_cmp_lg_u32 s12, 0
	s_cselect_b64 s[12:13], -1, 0
	s_cmp_lg_u64 s[12:13], 0
	s_addc_u32 s11, s11, 0
	v_cvt_f32_u32_e32 v0, s11
	s_load_dword s15, s[26:27], 0x18
	s_load_dwordx2 s[12:13], s[26:27], 0x20
	s_sub_i32 s14, 0, s11
	v_rcp_iflag_f32_e32 v0, v0
	v_mul_f32_e32 v0, 0x4f7ffffe, v0
	v_cvt_u32_f32_e32 v0, v0
	v_readfirstlane_b32 s16, v0
	s_mul_i32 s14, s14, s16
	s_mul_hi_u32 s14, s16, s14
	s_add_i32 s16, s16, s14
	s_mul_hi_u32 s14, s29, s16
	s_waitcnt lgkmcnt(0)
	s_cmp_eq_u64 s[12:13], 0
	v_mov_b32_e32 v0, s15
	s_cbranch_scc1 .LBB14_5
; %bb.4:
	v_mov_b32_e32 v0, 0
	global_load_dword v0, v0, s[12:13]
.LBB14_5:
	s_load_dwordx2 s[12:13], s[26:27], 0x30
	s_load_dword s15, s[26:27], 0x28
	s_waitcnt lgkmcnt(0)
	s_cmp_eq_u64 s[12:13], 0
	v_mov_b32_e32 v1, s15
	s_cbranch_scc1 .LBB14_7
; %bb.6:
	v_mov_b32_e32 v1, 0
	global_load_dword v1, v1, s[12:13]
.LBB14_7:
	s_mul_i32 s12, s14, s11
	s_sub_i32 s12, s29, s12
	s_add_i32 s13, s14, 1
	s_sub_i32 s15, s12, s11
	s_cmp_ge_u32 s12, s11
	s_cselect_b32 s13, s13, s14
	s_cselect_b32 s12, s15, s12
	s_add_i32 s14, s13, 1
	s_cmp_ge_u32 s12, s11
	s_cselect_b32 s12, s14, s13
	s_mul_i32 s11, s12, s11
	s_sub_i32 s11, s29, s11
	v_and_b32_e32 v2, 15, v41
	v_lshrrev_b32_e32 v4, 4, v41
	v_lshl_or_b32 v3, s11, 4, v2
	v_lshl_add_u32 v2, s12, 4, v4
	v_cmp_gt_u32_e32 vcc, s4, v3
	v_cmp_gt_u32_e64 s[4:5], s5, v2
	s_and_b64 s[4:5], vcc, s[4:5]
	s_and_saveexec_b64 s[12:13], s[4:5]
	s_cbranch_execz .LBB14_13
; %bb.8:
	s_load_dwordx4 s[12:15], s[26:27], 0x0
	s_load_dwordx2 s[4:5], s[26:27], 0x10
	s_mul_i32 s9, s9, s28
	v_mov_b32_e32 v5, 0
	v_mov_b32_e32 v4, 0
	s_waitcnt lgkmcnt(0)
	s_cmp_eq_u64 s[14:15], 0
	s_cbranch_scc1 .LBB14_10
; %bb.9:
	s_bitcmp1_b32 s10, 0
	s_cselect_b64 vcc, -1, 0
	v_cndmask_b32_e32 v4, v2, v3, vcc
	v_mul_lo_u32 v4, v4, s6
	v_cndmask_b32_e32 v6, v3, v2, vcc
	v_mov_b32_e32 v7, 0
	v_add3_u32 v6, v6, s9, v4
	v_lshlrev_b64 v[6:7], 2, v[6:7]
	v_mov_b32_e32 v4, s15
	v_add_co_u32_e32 v6, vcc, s14, v6
	v_addc_co_u32_e32 v7, vcc, v4, v7, vcc
	global_load_dword v4, v[6:7], off
.LBB14_10:
	s_cmp_eq_u64 s[4:5], 0
	s_cbranch_scc1 .LBB14_12
; %bb.11:
	s_load_dword s6, s[26:27], 0x50
	v_mov_b32_e32 v6, 0
	v_mov_b32_e32 v7, s5
	s_waitcnt lgkmcnt(0)
	s_bitcmp1_b32 s6, 8
	s_cselect_b64 vcc, -1, 0
	v_cndmask_b32_e32 v5, v2, v3, vcc
	v_mul_lo_u32 v5, v5, s7
	v_cndmask_b32_e32 v8, v3, v2, vcc
	v_add3_u32 v5, v8, s9, v5
	v_lshlrev_b64 v[5:6], 2, v[5:6]
	v_add_co_u32_e32 v5, vcc, s4, v5
	v_addc_co_u32_e32 v6, vcc, v7, v6, vcc
	global_load_dword v5, v[5:6], off
.LBB14_12:
	v_mul_lo_u32 v3, v3, s8
	s_waitcnt vmcnt(0)
	v_mul_f32_e32 v5, v1, v5
	v_mov_b32_e32 v1, 0
	v_fmac_f32_e32 v5, v0, v4
	v_add3_u32 v0, v2, s9, v3
	v_lshlrev_b64 v[0:1], 2, v[0:1]
	v_mov_b32_e32 v2, s13
	v_add_co_u32_e32 v0, vcc, s12, v0
	v_addc_co_u32_e32 v1, vcc, v2, v1, vcc
	global_store_dword v[0:1], v5, off
.LBB14_13:
	s_endpgm
	.section	.rodata,"a",@progbits
	.p2align	6, 0x0
	.amdhsa_kernel Transform_S_S_001_16_16_VW_1
		.amdhsa_group_segment_fixed_size 0
		.amdhsa_private_segment_fixed_size 64
		.amdhsa_kernarg_size 344
		.amdhsa_user_sgpr_count 8
		.amdhsa_user_sgpr_private_segment_buffer 1
		.amdhsa_user_sgpr_dispatch_ptr 0
		.amdhsa_user_sgpr_queue_ptr 0
		.amdhsa_user_sgpr_kernarg_segment_ptr 1
		.amdhsa_user_sgpr_dispatch_id 0
		.amdhsa_user_sgpr_flat_scratch_init 1
		.amdhsa_user_sgpr_private_segment_size 0
		.amdhsa_uses_dynamic_stack 0
		.amdhsa_system_sgpr_private_segment_wavefront_offset 1
		.amdhsa_system_sgpr_workgroup_id_x 1
		.amdhsa_system_sgpr_workgroup_id_y 0
		.amdhsa_system_sgpr_workgroup_id_z 1
		.amdhsa_system_sgpr_workgroup_info 0
		.amdhsa_system_vgpr_workitem_id 0
		.amdhsa_next_free_vgpr 42
		.amdhsa_next_free_sgpr 34
		.amdhsa_reserve_vcc 1
		.amdhsa_reserve_flat_scratch 1
		.amdhsa_float_round_mode_32 0
		.amdhsa_float_round_mode_16_64 0
		.amdhsa_float_denorm_mode_32 3
		.amdhsa_float_denorm_mode_16_64 3
		.amdhsa_dx10_clamp 1
		.amdhsa_ieee_mode 1
		.amdhsa_fp16_overflow 0
		.amdhsa_exception_fp_ieee_invalid_op 0
		.amdhsa_exception_fp_denorm_src 0
		.amdhsa_exception_fp_ieee_div_zero 0
		.amdhsa_exception_fp_ieee_overflow 0
		.amdhsa_exception_fp_ieee_underflow 0
		.amdhsa_exception_fp_ieee_inexact 0
		.amdhsa_exception_int_div_zero 0
	.end_amdhsa_kernel
	.text
.Lfunc_end14:
	.size	Transform_S_S_001_16_16_VW_1, .Lfunc_end14-Transform_S_S_001_16_16_VW_1
                                        ; -- End function
	.set Transform_S_S_001_16_16_VW_1.num_vgpr, max(42, .L__assert_fail.num_vgpr)
	.set Transform_S_S_001_16_16_VW_1.num_agpr, max(0, .L__assert_fail.num_agpr)
	.set Transform_S_S_001_16_16_VW_1.numbered_sgpr, max(33, .L__assert_fail.numbered_sgpr)
	.set Transform_S_S_001_16_16_VW_1.num_named_barrier, max(0, .L__assert_fail.num_named_barrier)
	.set Transform_S_S_001_16_16_VW_1.private_seg_size, 0+max(.L__assert_fail.private_seg_size)
	.set Transform_S_S_001_16_16_VW_1.uses_vcc, or(1, .L__assert_fail.uses_vcc)
	.set Transform_S_S_001_16_16_VW_1.uses_flat_scratch, or(1, .L__assert_fail.uses_flat_scratch)
	.set Transform_S_S_001_16_16_VW_1.has_dyn_sized_stack, or(0, .L__assert_fail.has_dyn_sized_stack)
	.set Transform_S_S_001_16_16_VW_1.has_recursion, or(0, .L__assert_fail.has_recursion)
	.set Transform_S_S_001_16_16_VW_1.has_indirect_call, or(0, .L__assert_fail.has_indirect_call)
	.section	.AMDGPU.csdata,"",@progbits
; Kernel info:
; codeLenInByte = 660
; TotalNumSgprs: 40
; NumVgprs: 42
; ScratchSize: 64
; MemoryBound: 0
; FloatMode: 240
; IeeeMode: 1
; LDSByteSize: 0 bytes/workgroup (compile time only)
; SGPRBlocks: 4
; VGPRBlocks: 10
; NumSGPRsForWavesPerEU: 40
; NumVGPRsForWavesPerEU: 42
; Occupancy: 5
; WaveLimiterHint : 1
; COMPUTE_PGM_RSRC2:SCRATCH_EN: 1
; COMPUTE_PGM_RSRC2:USER_SGPR: 8
; COMPUTE_PGM_RSRC2:TRAP_HANDLER: 0
; COMPUTE_PGM_RSRC2:TGID_X_EN: 1
; COMPUTE_PGM_RSRC2:TGID_Y_EN: 0
; COMPUTE_PGM_RSRC2:TGID_Z_EN: 1
; COMPUTE_PGM_RSRC2:TIDIG_COMP_CNT: 0
	.text
	.protected	Transform_S_S_001_16_16_VW_4 ; -- Begin function Transform_S_S_001_16_16_VW_4
	.globl	Transform_S_S_001_16_16_VW_4
	.p2align	8
	.type	Transform_S_S_001_16_16_VW_4,@function
Transform_S_S_001_16_16_VW_4:           ; @Transform_S_S_001_16_16_VW_4
; %bb.0:
	s_mov_b64 s[26:27], s[4:5]
	s_load_dword s4, s[6:7], 0x64
	s_add_u32 flat_scratch_lo, s8, s12
	s_addc_u32 flat_scratch_hi, s9, 0
	s_add_u32 s0, s0, s12
	s_addc_u32 s1, s1, 0
	s_waitcnt lgkmcnt(0)
	s_and_b32 s4, s4, 0xffff
	s_mov_b32 s35, s11
	s_mov_b32 s34, s10
	s_mov_b64 s[28:29], s[6:7]
	v_mov_b32_e32 v41, v2
	v_mov_b32_e32 v43, v1
	;; [unrolled: 1-line block ×3, first 2 shown]
	s_cmpk_eq_i32 s4, 0x100
	s_mov_b64 s[4:5], -1
	s_mov_b32 s32, 0
	s_cbranch_scc1 .LBB15_2
; %bb.1:
	s_add_u32 s8, s28, 0x58
	s_addc_u32 s9, s29, 0
	s_getpc_b64 s[4:5]
	s_add_u32 s4, s4, __PRETTY_FUNCTION__._ZN10amd_detail9transformIffLb0ELb0ELb1ELj16ELj16ELj4EEEvPT_PKS1_S4_T0_PKS5_S5_S7_jjjjjjbb@rel32@lo+4
	s_addc_u32 s5, s5, __PRETTY_FUNCTION__._ZN10amd_detail9transformIffLb0ELb0ELb1ELj16ELj16ELj4EEEvPT_PKS1_S4_T0_PKS5_S5_S7_jjjjjjbb@rel32@hi+12
	s_getpc_b64 s[6:7]
	s_add_u32 s6, s6, __assert_fail@rel32@lo+4
	s_addc_u32 s7, s7, __assert_fail@rel32@hi+12
	v_mov_b32_e32 v0, s4
	v_mov_b32_e32 v1, s5
	s_swappc_b64 s[30:31], s[6:7]
	s_mov_b64 s[4:5], 0
	; divergent unreachable
.LBB15_2:
	s_andn2_b64 vcc, exec, s[4:5]
	s_cbranch_vccnz .LBB15_54
; %bb.3:
	s_load_dwordx4 s[12:15], s[28:29], 0x38
	s_waitcnt lgkmcnt(0)
	s_lshr_b32 s6, s12, 4
	s_and_b32 s4, s12, 15
	s_cmp_lg_u32 s4, 0
	s_cselect_b64 s[4:5], -1, 0
	s_cmp_lg_u64 s[4:5], 0
	s_addc_u32 s6, s6, 0
	v_cvt_f32_u32_e32 v0, s6
	s_load_dword s8, s[28:29], 0x18
	s_load_dwordx2 s[4:5], s[28:29], 0x20
	s_sub_i32 s7, 0, s6
	v_rcp_iflag_f32_e32 v0, v0
	s_waitcnt lgkmcnt(0)
	v_mov_b32_e32 v13, s8
	v_mul_f32_e32 v0, 0x4f7ffffe, v0
	v_cvt_u32_f32_e32 v0, v0
	v_readfirstlane_b32 s9, v0
	s_mul_i32 s7, s7, s9
	s_mul_hi_u32 s7, s9, s7
	s_add_i32 s9, s9, s7
	s_mul_hi_u32 s7, s34, s9
	s_cmp_eq_u64 s[4:5], 0
	s_cbranch_scc1 .LBB15_5
; %bb.4:
	v_mov_b32_e32 v0, 0
	global_load_dword v13, v0, s[4:5]
.LBB15_5:
	s_load_dwordx2 s[4:5], s[28:29], 0x30
	s_load_dword s8, s[28:29], 0x28
	s_waitcnt lgkmcnt(0)
	s_cmp_eq_u64 s[4:5], 0
	v_mov_b32_e32 v14, s8
	s_cbranch_scc1 .LBB15_7
; %bb.6:
	v_mov_b32_e32 v0, 0
	global_load_dword v14, v0, s[4:5]
.LBB15_7:
	s_mul_i32 s4, s7, s6
	s_sub_i32 s4, s34, s4
	s_add_i32 s5, s7, 1
	s_sub_i32 s8, s4, s6
	s_cmp_ge_u32 s4, s6
	s_cselect_b32 s5, s5, s7
	s_cselect_b32 s4, s8, s4
	s_add_i32 s7, s5, 1
	s_cmp_ge_u32 s4, s6
	s_cselect_b32 s30, s7, s5
	s_mul_i32 s31, s30, s6
	s_sub_i32 s4, s34, s31
	v_and_b32_e32 v8, 15, v42
	v_lshl_or_b32 v4, s4, 4, v8
	v_cmp_gt_u32_e32 vcc, s12, v4
	s_and_saveexec_b64 s[4:5], vcc
	s_cbranch_execz .LBB15_54
; %bb.8:
	v_lshrrev_b32_e32 v0, 2, v42
	s_lshl_b32 s12, s30, 6
	v_and_b32_e32 v10, 0xfc, v0
	s_load_dwordx4 s[20:23], s[28:29], 0x48
	v_add_u32_e32 v9, s12, v10
	v_add_u32_e32 v12, 4, v9
	v_sub_u32_e64 v11, v12, s13 clamp
	s_load_dwordx4 s[16:19], s[28:29], 0x0
	s_load_dwordx2 s[24:25], s[28:29], 0x10
	v_sub_u32_e32 v3, v9, v11
	v_mad_u64_u32 v[0:1], s[4:5], v4, s14, v[3:4]
	s_waitcnt lgkmcnt(0)
	s_bitcmp1_b32 s22, 0
	s_cselect_b64 vcc, -1, 0
	s_cmp_lg_u64 s[18:19], 0
	s_mul_i32 s21, s21, s35
	s_cselect_b64 s[10:11], -1, 0
	s_cmp_eq_u64 s[18:19], 0
	v_mov_b32_e32 v16, 0
	v_mov_b32_e32 v15, 0
	s_cbranch_scc1 .LBB15_10
; %bb.9:
	v_mad_u64_u32 v[1:2], s[4:5], v3, s14, v[4:5]
	v_mov_b32_e32 v2, 0
	v_mov_b32_e32 v5, s19
	v_cndmask_b32_e32 v1, v1, v0, vcc
	v_add_u32_e32 v1, s21, v1
	v_lshlrev_b64 v[1:2], 2, v[1:2]
	v_add_co_u32_e64 v1, s[4:5], s18, v1
	v_addc_co_u32_e64 v2, s[4:5], v5, v2, s[4:5]
	global_load_dword v15, v[1:2], off
.LBB15_10:
	s_load_dword s6, s[28:29], 0x50
	s_xor_b64 s[8:9], vcc, -1
	v_mad_u64_u32 v[1:2], s[4:5], v4, s15, v[3:4]
	s_waitcnt lgkmcnt(0)
	s_bitcmp1_b32 s6, 8
	s_cselect_b64 s[6:7], -1, 0
	s_cmp_lg_u64 s[24:25], 0
	s_cselect_b64 s[22:23], -1, 0
	s_cmp_eq_u64 s[24:25], 0
	s_cbranch_scc1 .LBB15_12
; %bb.11:
	v_mad_u64_u32 v[5:6], s[4:5], v3, s15, v[4:5]
	v_mov_b32_e32 v6, 0
	v_mov_b32_e32 v2, s25
	v_cndmask_b32_e64 v5, v5, v1, s[6:7]
	v_add_u32_e32 v5, s21, v5
	v_lshlrev_b64 v[5:6], 2, v[5:6]
	v_add_co_u32_e32 v5, vcc, s24, v5
	v_addc_co_u32_e32 v6, vcc, v2, v6, vcc
	global_load_dword v16, v[5:6], off
.LBB15_12:
	v_cndmask_b32_e64 v2, 0, 1, s[8:9]
	v_cmp_ne_u32_e64 s[4:5], 1, v2
	s_andn2_b64 vcc, exec, s[8:9]
	s_cbranch_vccnz .LBB15_14
; %bb.13:
	v_mul_lo_u32 v2, s14, v3
	v_add3_u32 v2, v2, s14, v4
	s_xor_b64 s[8:9], s[6:7], -1
	s_cbranch_execz .LBB15_15
	s_branch .LBB15_16
.LBB15_14:
                                        ; implicit-def: $vgpr2
	s_xor_b64 s[8:9], s[6:7], -1
.LBB15_15:
	v_add_u32_e32 v2, 1, v0
.LBB15_16:
	v_cndmask_b32_e64 v5, 0, 1, s[8:9]
	v_cmp_ne_u32_e64 s[6:7], 1, v5
	s_andn2_b64 vcc, exec, s[8:9]
	s_cbranch_vccnz .LBB15_18
; %bb.17:
	v_mul_lo_u32 v5, s15, v3
	v_add3_u32 v5, v5, s15, v4
	s_cbranch_execz .LBB15_19
	s_branch .LBB15_20
.LBB15_18:
                                        ; implicit-def: $vgpr5
.LBB15_19:
	v_add_u32_e32 v5, 1, v1
.LBB15_20:
	v_cndmask_b32_e64 v6, 0, 1, s[10:11]
	v_mov_b32_e32 v18, 0
	v_cmp_ne_u32_e64 s[8:9], 1, v6
	s_andn2_b64 vcc, exec, s[10:11]
	v_mov_b32_e32 v17, 0
	s_cbranch_vccnz .LBB15_22
; %bb.21:
	v_add_u32_e32 v6, s21, v2
	v_mov_b32_e32 v7, 0
	v_lshlrev_b64 v[6:7], 2, v[6:7]
	v_mov_b32_e32 v2, s19
	v_add_co_u32_e32 v6, vcc, s18, v6
	v_addc_co_u32_e32 v7, vcc, v2, v7, vcc
	global_load_dword v17, v[6:7], off
.LBB15_22:
	v_cndmask_b32_e64 v2, 0, 1, s[22:23]
	v_cmp_ne_u32_e64 s[10:11], 1, v2
	s_andn2_b64 vcc, exec, s[22:23]
	s_cbranch_vccnz .LBB15_24
; %bb.23:
	v_add_u32_e32 v5, s21, v5
	v_mov_b32_e32 v6, 0
	v_lshlrev_b64 v[5:6], 2, v[5:6]
	v_mov_b32_e32 v2, s25
	v_add_co_u32_e32 v5, vcc, s24, v5
	v_addc_co_u32_e32 v6, vcc, v2, v6, vcc
	global_load_dword v18, v[5:6], off
.LBB15_24:
	s_and_b64 vcc, exec, s[4:5]
	v_add_u32_e32 v2, 2, v3
	s_cbranch_vccnz .LBB15_26
; %bb.25:
	v_mad_u64_u32 v[5:6], s[22:23], v2, s14, v[4:5]
	s_cbranch_execz .LBB15_27
	s_branch .LBB15_28
.LBB15_26:
                                        ; implicit-def: $vgpr5
.LBB15_27:
	v_add_u32_e32 v5, 2, v0
.LBB15_28:
	s_and_b64 vcc, exec, s[6:7]
	s_cbranch_vccnz .LBB15_30
; %bb.29:
	v_mad_u64_u32 v[6:7], s[22:23], v2, s15, v[4:5]
	s_cbranch_execz .LBB15_31
	s_branch .LBB15_32
.LBB15_30:
                                        ; implicit-def: $vgpr6
.LBB15_31:
	v_add_u32_e32 v6, 2, v1
.LBB15_32:
	v_mov_b32_e32 v19, 0
	s_and_b64 vcc, exec, s[8:9]
	v_mov_b32_e32 v7, 0
	s_cbranch_vccnz .LBB15_34
; %bb.33:
	v_add_u32_e32 v20, s21, v5
	v_mov_b32_e32 v21, 0
	v_lshlrev_b64 v[20:21], 2, v[20:21]
	v_mov_b32_e32 v2, s19
	v_add_co_u32_e32 v20, vcc, s18, v20
	v_addc_co_u32_e32 v21, vcc, v2, v21, vcc
	global_load_dword v7, v[20:21], off
.LBB15_34:
	s_and_b64 vcc, exec, s[10:11]
	s_cbranch_vccnz .LBB15_36
; %bb.35:
	v_add_u32_e32 v5, s21, v6
	v_mov_b32_e32 v6, 0
	v_lshlrev_b64 v[5:6], 2, v[5:6]
	v_mov_b32_e32 v2, s25
	v_add_co_u32_e32 v5, vcc, s24, v5
	v_addc_co_u32_e32 v6, vcc, v2, v6, vcc
	global_load_dword v19, v[5:6], off
.LBB15_36:
	s_and_b64 vcc, exec, s[4:5]
	v_add_u32_e32 v5, 3, v3
	s_cbranch_vccnz .LBB15_38
; %bb.37:
	v_mad_u64_u32 v[2:3], s[4:5], v5, s14, v[4:5]
	s_cbranch_execz .LBB15_39
	s_branch .LBB15_40
.LBB15_38:
                                        ; implicit-def: $vgpr2
.LBB15_39:
	v_add_u32_e32 v2, 3, v0
.LBB15_40:
	s_and_b64 vcc, exec, s[6:7]
	s_cbranch_vccnz .LBB15_42
; %bb.41:
	v_mad_u64_u32 v[5:6], s[4:5], v5, s15, v[4:5]
	s_cbranch_execz .LBB15_43
	s_branch .LBB15_44
.LBB15_42:
                                        ; implicit-def: $vgpr5
.LBB15_43:
	v_add_u32_e32 v5, 3, v1
.LBB15_44:
	v_mov_b32_e32 v3, 0
	s_and_b64 vcc, exec, s[8:9]
	v_mov_b32_e32 v6, 0
	s_cbranch_vccnz .LBB15_46
; %bb.45:
	v_add_u32_e32 v0, s21, v2
	v_mov_b32_e32 v1, 0
	v_lshlrev_b64 v[0:1], 2, v[0:1]
	v_mov_b32_e32 v2, s19
	v_add_co_u32_e32 v0, vcc, s18, v0
	v_addc_co_u32_e32 v1, vcc, v2, v1, vcc
	global_load_dword v6, v[0:1], off
.LBB15_46:
	s_and_b64 vcc, exec, s[10:11]
	s_cbranch_vccnz .LBB15_48
; %bb.47:
	v_add_u32_e32 v0, s21, v5
	v_mov_b32_e32 v1, 0
	v_lshlrev_b64 v[0:1], 2, v[0:1]
	v_mov_b32_e32 v2, s25
	v_add_co_u32_e32 v0, vcc, s24, v0
	v_addc_co_u32_e32 v1, vcc, v2, v1, vcc
	global_load_dword v3, v[0:1], off
.LBB15_48:
	s_load_dwordx2 s[4:5], s[26:27], 0x4
	s_waitcnt vmcnt(0)
	v_mul_f32_e32 v2, v14, v19
	v_mul_f32_e32 v0, v14, v16
	;; [unrolled: 1-line block ×4, first 2 shown]
	s_waitcnt lgkmcnt(0)
	s_lshr_b32 s4, s4, 16
	s_mul_i32 s4, s4, s5
	v_mul_lo_u32 v5, s4, v42
	v_fmac_f32_e32 v2, v13, v7
	v_fmac_f32_e32 v0, v13, v15
	;; [unrolled: 1-line block ×3, first 2 shown]
	v_mad_u32_u24 v7, v43, s5, v5
	v_add_lshl_u32 v7, v7, v41, 4
	v_fmac_f32_e32 v3, v13, v6
	v_cmp_ge_u32_e32 vcc, s13, v12
	ds_write_b128 v7, v[0:3]
	s_and_saveexec_b64 s[6:7], vcc
	s_xor_b64 s[6:7], exec, s[6:7]
	s_cbranch_execz .LBB15_50
; %bb.49:
	v_mul_lo_u32 v4, v4, s20
	v_mov_b32_e32 v5, 0
	v_mov_b32_e32 v8, s17
                                        ; implicit-def: $vgpr10
                                        ; implicit-def: $vgpr12
                                        ; implicit-def: $vgpr42
                                        ; implicit-def: $vgpr43
                                        ; implicit-def: $vgpr41
	v_add3_u32 v4, v9, s21, v4
	v_sub_u32_e32 v4, v4, v11
	v_lshlrev_b64 v[6:7], 2, v[4:5]
                                        ; implicit-def: $vgpr9
                                        ; implicit-def: $vgpr11
	v_add_co_u32_e32 v6, vcc, s16, v6
	v_addc_co_u32_e32 v7, vcc, v8, v7, vcc
	global_store_dword v[6:7], v0, off
	v_add_u32_e32 v6, 1, v4
	v_mov_b32_e32 v7, v5
	v_lshlrev_b64 v[6:7], 2, v[6:7]
	v_mov_b32_e32 v0, s17
	v_add_co_u32_e32 v6, vcc, s16, v6
	v_addc_co_u32_e32 v7, vcc, v0, v7, vcc
	global_store_dword v[6:7], v1, off
	v_add_u32_e32 v0, 2, v4
	v_mov_b32_e32 v1, v5
	v_lshlrev_b64 v[0:1], 2, v[0:1]
	v_mov_b32_e32 v6, s17
	v_add_co_u32_e32 v0, vcc, s16, v0
	v_addc_co_u32_e32 v1, vcc, v6, v1, vcc
	v_add_u32_e32 v4, 3, v4
	global_store_dword v[0:1], v2, off
	v_lshlrev_b64 v[0:1], 2, v[4:5]
	v_mov_b32_e32 v2, s17
	v_add_co_u32_e32 v0, vcc, s16, v0
	v_addc_co_u32_e32 v1, vcc, v2, v1, vcc
	global_store_dword v[0:1], v3, off
                                        ; implicit-def: $vgpr8
                                        ; implicit-def: $vgpr5
.LBB15_50:
	s_andn2_saveexec_b64 s[6:7], s[6:7]
	s_cbranch_execz .LBB15_54
; %bb.51:
	v_cmp_gt_u32_e32 vcc, 4, v11
	s_and_b64 exec, exec, vcc
	s_cbranch_execz .LBB15_54
; %bb.52:
	v_lshl_or_b32 v0, s34, 4, v8
	s_lshl_b32 s4, s31, 4
	v_mul_u32_u24_e32 v1, s5, v43
	v_subrev_u32_e32 v0, s4, v0
	v_lshrrev_b32_e32 v4, 4, v42
	v_mul_lo_u32 v0, s20, v0
	v_add3_u32 v1, v1, v41, v4
	v_min_u32_e32 v3, s13, v12
	v_add_lshl_u32 v1, v1, v5, 4
	v_sub_u32_e32 v2, v9, v3
	v_lshl_add_u32 v1, s30, 8, v1
	v_lshlrev_b32_e32 v3, 2, v3
	s_add_i32 s12, s12, s21
	v_sub_u32_e32 v1, v1, v3
	v_add_u32_e32 v2, 3, v2
	v_add3_u32 v0, s12, v0, v10
	v_add_u32_e32 v3, 16, v1
	s_mov_b64 s[6:7], 0
	v_mov_b32_e32 v1, 0
	v_mov_b32_e32 v4, s17
.LBB15_53:                              ; =>This Inner Loop Header: Depth=1
	ds_read_b32 v7, v3
	v_lshlrev_b64 v[5:6], 2, v[0:1]
	v_add_u32_e32 v2, 1, v2
	v_cmp_lt_u32_e32 vcc, 2, v2
	v_add_co_u32_e64 v5, s[4:5], s16, v5
	v_add_u32_e32 v0, 1, v0
	v_add_u32_e32 v3, 4, v3
	v_addc_co_u32_e64 v6, s[4:5], v4, v6, s[4:5]
	s_or_b64 s[6:7], vcc, s[6:7]
	s_waitcnt lgkmcnt(0)
	global_store_dword v[5:6], v7, off
	s_andn2_b64 exec, exec, s[6:7]
	s_cbranch_execnz .LBB15_53
.LBB15_54:
	s_endpgm
	.section	.rodata,"a",@progbits
	.p2align	6, 0x0
	.amdhsa_kernel Transform_S_S_001_16_16_VW_4
		.amdhsa_group_segment_fixed_size 16384
		.amdhsa_private_segment_fixed_size 64
		.amdhsa_kernarg_size 344
		.amdhsa_user_sgpr_count 10
		.amdhsa_user_sgpr_private_segment_buffer 1
		.amdhsa_user_sgpr_dispatch_ptr 1
		.amdhsa_user_sgpr_queue_ptr 0
		.amdhsa_user_sgpr_kernarg_segment_ptr 1
		.amdhsa_user_sgpr_dispatch_id 0
		.amdhsa_user_sgpr_flat_scratch_init 1
		.amdhsa_user_sgpr_private_segment_size 0
		.amdhsa_uses_dynamic_stack 0
		.amdhsa_system_sgpr_private_segment_wavefront_offset 1
		.amdhsa_system_sgpr_workgroup_id_x 1
		.amdhsa_system_sgpr_workgroup_id_y 0
		.amdhsa_system_sgpr_workgroup_id_z 1
		.amdhsa_system_sgpr_workgroup_info 0
		.amdhsa_system_vgpr_workitem_id 2
		.amdhsa_next_free_vgpr 44
		.amdhsa_next_free_sgpr 36
		.amdhsa_reserve_vcc 1
		.amdhsa_reserve_flat_scratch 1
		.amdhsa_float_round_mode_32 0
		.amdhsa_float_round_mode_16_64 0
		.amdhsa_float_denorm_mode_32 3
		.amdhsa_float_denorm_mode_16_64 3
		.amdhsa_dx10_clamp 1
		.amdhsa_ieee_mode 1
		.amdhsa_fp16_overflow 0
		.amdhsa_exception_fp_ieee_invalid_op 0
		.amdhsa_exception_fp_denorm_src 0
		.amdhsa_exception_fp_ieee_div_zero 0
		.amdhsa_exception_fp_ieee_overflow 0
		.amdhsa_exception_fp_ieee_underflow 0
		.amdhsa_exception_fp_ieee_inexact 0
		.amdhsa_exception_int_div_zero 0
	.end_amdhsa_kernel
	.text
.Lfunc_end15:
	.size	Transform_S_S_001_16_16_VW_4, .Lfunc_end15-Transform_S_S_001_16_16_VW_4
                                        ; -- End function
	.set Transform_S_S_001_16_16_VW_4.num_vgpr, max(44, .L__assert_fail.num_vgpr)
	.set Transform_S_S_001_16_16_VW_4.num_agpr, max(0, .L__assert_fail.num_agpr)
	.set Transform_S_S_001_16_16_VW_4.numbered_sgpr, max(36, .L__assert_fail.numbered_sgpr)
	.set Transform_S_S_001_16_16_VW_4.num_named_barrier, max(0, .L__assert_fail.num_named_barrier)
	.set Transform_S_S_001_16_16_VW_4.private_seg_size, 0+max(.L__assert_fail.private_seg_size)
	.set Transform_S_S_001_16_16_VW_4.uses_vcc, or(1, .L__assert_fail.uses_vcc)
	.set Transform_S_S_001_16_16_VW_4.uses_flat_scratch, or(1, .L__assert_fail.uses_flat_scratch)
	.set Transform_S_S_001_16_16_VW_4.has_dyn_sized_stack, or(0, .L__assert_fail.has_dyn_sized_stack)
	.set Transform_S_S_001_16_16_VW_4.has_recursion, or(0, .L__assert_fail.has_recursion)
	.set Transform_S_S_001_16_16_VW_4.has_indirect_call, or(0, .L__assert_fail.has_indirect_call)
	.section	.AMDGPU.csdata,"",@progbits
; Kernel info:
; codeLenInByte = 1672
; TotalNumSgprs: 42
; NumVgprs: 44
; ScratchSize: 64
; MemoryBound: 0
; FloatMode: 240
; IeeeMode: 1
; LDSByteSize: 16384 bytes/workgroup (compile time only)
; SGPRBlocks: 5
; VGPRBlocks: 10
; NumSGPRsForWavesPerEU: 42
; NumVGPRsForWavesPerEU: 44
; Occupancy: 5
; WaveLimiterHint : 1
; COMPUTE_PGM_RSRC2:SCRATCH_EN: 1
; COMPUTE_PGM_RSRC2:USER_SGPR: 10
; COMPUTE_PGM_RSRC2:TRAP_HANDLER: 0
; COMPUTE_PGM_RSRC2:TGID_X_EN: 1
; COMPUTE_PGM_RSRC2:TGID_Y_EN: 0
; COMPUTE_PGM_RSRC2:TGID_Z_EN: 1
; COMPUTE_PGM_RSRC2:TIDIG_COMP_CNT: 2
	.text
	.protected	Transform_S_S_000_16_16_VW_1 ; -- Begin function Transform_S_S_000_16_16_VW_1
	.globl	Transform_S_S_000_16_16_VW_1
	.p2align	8
	.type	Transform_S_S_000_16_16_VW_1,@function
Transform_S_S_000_16_16_VW_1:           ; @Transform_S_S_000_16_16_VW_1
; %bb.0:
	s_mov_b64 s[26:27], s[4:5]
	s_load_dword s4, s[4:5], 0x64
	s_add_u32 flat_scratch_lo, s6, s10
	s_addc_u32 flat_scratch_hi, s7, 0
	s_add_u32 s0, s0, s10
	s_addc_u32 s1, s1, 0
	s_waitcnt lgkmcnt(0)
	s_and_b32 s4, s4, 0xffff
	s_mov_b32 s28, s9
	s_mov_b32 s29, s8
	v_mov_b32_e32 v41, v0
	s_cmpk_eq_i32 s4, 0x100
	s_mov_b64 s[4:5], -1
	s_mov_b32 s32, 0
	s_cbranch_scc1 .LBB16_2
; %bb.1:
	s_add_u32 s8, s26, 0x58
	s_addc_u32 s9, s27, 0
	s_getpc_b64 s[4:5]
	s_add_u32 s4, s4, __PRETTY_FUNCTION__._ZN10amd_detail9transformIffLb0ELb0ELb0ELj16ELj16ELj1EEEvPT_PKS1_S4_T0_PKS5_S5_S7_jjjjjjbb@rel32@lo+4
	s_addc_u32 s5, s5, __PRETTY_FUNCTION__._ZN10amd_detail9transformIffLb0ELb0ELb0ELj16ELj16ELj1EEEvPT_PKS1_S4_T0_PKS5_S5_S7_jjjjjjbb@rel32@hi+12
	s_getpc_b64 s[6:7]
	s_add_u32 s6, s6, __assert_fail@rel32@lo+4
	s_addc_u32 s7, s7, __assert_fail@rel32@hi+12
	v_mov_b32_e32 v0, s4
	v_mov_b32_e32 v1, s5
	s_swappc_b64 s[30:31], s[6:7]
	s_mov_b64 s[4:5], 0
	; divergent unreachable
.LBB16_2:
	s_andn2_b64 vcc, exec, s[4:5]
	s_cbranch_vccnz .LBB16_13
; %bb.3:
	s_load_dwordx8 s[4:11], s[26:27], 0x38
	s_waitcnt lgkmcnt(0)
	s_lshr_b32 s11, s4, 4
	s_and_b32 s12, s4, 15
	s_cmp_lg_u32 s12, 0
	s_cselect_b64 s[12:13], -1, 0
	s_cmp_lg_u64 s[12:13], 0
	s_addc_u32 s11, s11, 0
	v_cvt_f32_u32_e32 v0, s11
	s_load_dword s15, s[26:27], 0x18
	s_load_dwordx2 s[12:13], s[26:27], 0x20
	s_sub_i32 s14, 0, s11
	v_rcp_iflag_f32_e32 v0, v0
	v_mul_f32_e32 v0, 0x4f7ffffe, v0
	v_cvt_u32_f32_e32 v0, v0
	v_readfirstlane_b32 s16, v0
	s_mul_i32 s14, s14, s16
	s_mul_hi_u32 s14, s16, s14
	s_add_i32 s16, s16, s14
	s_mul_hi_u32 s14, s29, s16
	s_waitcnt lgkmcnt(0)
	s_cmp_eq_u64 s[12:13], 0
	v_mov_b32_e32 v0, s15
	s_cbranch_scc1 .LBB16_5
; %bb.4:
	v_mov_b32_e32 v0, 0
	global_load_dword v0, v0, s[12:13]
.LBB16_5:
	s_load_dwordx2 s[12:13], s[26:27], 0x30
	s_load_dword s15, s[26:27], 0x28
	s_waitcnt lgkmcnt(0)
	s_cmp_eq_u64 s[12:13], 0
	v_mov_b32_e32 v1, s15
	s_cbranch_scc1 .LBB16_7
; %bb.6:
	v_mov_b32_e32 v1, 0
	global_load_dword v1, v1, s[12:13]
.LBB16_7:
	s_mul_i32 s12, s14, s11
	s_sub_i32 s12, s29, s12
	s_add_i32 s13, s14, 1
	s_sub_i32 s15, s12, s11
	s_cmp_ge_u32 s12, s11
	s_cselect_b32 s13, s13, s14
	s_cselect_b32 s12, s15, s12
	s_add_i32 s14, s13, 1
	s_cmp_ge_u32 s12, s11
	s_cselect_b32 s12, s14, s13
	s_mul_i32 s11, s12, s11
	s_sub_i32 s11, s29, s11
	v_and_b32_e32 v2, 15, v41
	v_lshrrev_b32_e32 v3, 4, v41
	v_lshl_or_b32 v2, s11, 4, v2
	v_lshl_add_u32 v3, s12, 4, v3
	v_cmp_gt_u32_e32 vcc, s4, v2
	v_cmp_gt_u32_e64 s[4:5], s5, v3
	s_and_b64 s[4:5], vcc, s[4:5]
	s_and_saveexec_b64 s[12:13], s[4:5]
	s_cbranch_execz .LBB16_13
; %bb.8:
	s_load_dwordx4 s[12:15], s[26:27], 0x0
	s_load_dwordx2 s[4:5], s[26:27], 0x10
	s_mul_i32 s9, s9, s28
	v_mov_b32_e32 v5, 0
	v_mov_b32_e32 v4, 0
	s_waitcnt lgkmcnt(0)
	s_cmp_eq_u64 s[14:15], 0
	s_cbranch_scc1 .LBB16_10
; %bb.9:
	s_bitcmp1_b32 s10, 0
	s_cselect_b64 vcc, -1, 0
	v_cndmask_b32_e32 v4, v3, v2, vcc
	v_mul_lo_u32 v4, v4, s6
	v_cndmask_b32_e32 v6, v2, v3, vcc
	v_mov_b32_e32 v7, 0
	v_add3_u32 v6, v6, s9, v4
	v_lshlrev_b64 v[6:7], 2, v[6:7]
	v_mov_b32_e32 v4, s15
	v_add_co_u32_e32 v6, vcc, s14, v6
	v_addc_co_u32_e32 v7, vcc, v4, v7, vcc
	global_load_dword v4, v[6:7], off
.LBB16_10:
	s_cmp_eq_u64 s[4:5], 0
	s_cbranch_scc1 .LBB16_12
; %bb.11:
	s_load_dword s6, s[26:27], 0x50
	v_mov_b32_e32 v6, 0
	v_mov_b32_e32 v7, s5
	s_waitcnt lgkmcnt(0)
	s_bitcmp1_b32 s6, 8
	s_cselect_b64 vcc, -1, 0
	v_cndmask_b32_e32 v5, v3, v2, vcc
	v_mul_lo_u32 v5, v5, s7
	v_cndmask_b32_e32 v8, v2, v3, vcc
	v_add3_u32 v5, v8, s9, v5
	v_lshlrev_b64 v[5:6], 2, v[5:6]
	v_add_co_u32_e32 v5, vcc, s4, v5
	v_addc_co_u32_e32 v6, vcc, v7, v6, vcc
	global_load_dword v5, v[5:6], off
.LBB16_12:
	v_mul_lo_u32 v3, v3, s8
	s_waitcnt vmcnt(0)
	v_mul_f32_e32 v5, v1, v5
	v_mov_b32_e32 v1, 0
	v_fmac_f32_e32 v5, v0, v4
	v_add3_u32 v0, v2, s9, v3
	v_lshlrev_b64 v[0:1], 2, v[0:1]
	v_mov_b32_e32 v2, s13
	v_add_co_u32_e32 v0, vcc, s12, v0
	v_addc_co_u32_e32 v1, vcc, v2, v1, vcc
	global_store_dword v[0:1], v5, off
.LBB16_13:
	s_endpgm
	.section	.rodata,"a",@progbits
	.p2align	6, 0x0
	.amdhsa_kernel Transform_S_S_000_16_16_VW_1
		.amdhsa_group_segment_fixed_size 0
		.amdhsa_private_segment_fixed_size 64
		.amdhsa_kernarg_size 344
		.amdhsa_user_sgpr_count 8
		.amdhsa_user_sgpr_private_segment_buffer 1
		.amdhsa_user_sgpr_dispatch_ptr 0
		.amdhsa_user_sgpr_queue_ptr 0
		.amdhsa_user_sgpr_kernarg_segment_ptr 1
		.amdhsa_user_sgpr_dispatch_id 0
		.amdhsa_user_sgpr_flat_scratch_init 1
		.amdhsa_user_sgpr_private_segment_size 0
		.amdhsa_uses_dynamic_stack 0
		.amdhsa_system_sgpr_private_segment_wavefront_offset 1
		.amdhsa_system_sgpr_workgroup_id_x 1
		.amdhsa_system_sgpr_workgroup_id_y 0
		.amdhsa_system_sgpr_workgroup_id_z 1
		.amdhsa_system_sgpr_workgroup_info 0
		.amdhsa_system_vgpr_workitem_id 0
		.amdhsa_next_free_vgpr 42
		.amdhsa_next_free_sgpr 34
		.amdhsa_reserve_vcc 1
		.amdhsa_reserve_flat_scratch 1
		.amdhsa_float_round_mode_32 0
		.amdhsa_float_round_mode_16_64 0
		.amdhsa_float_denorm_mode_32 3
		.amdhsa_float_denorm_mode_16_64 3
		.amdhsa_dx10_clamp 1
		.amdhsa_ieee_mode 1
		.amdhsa_fp16_overflow 0
		.amdhsa_exception_fp_ieee_invalid_op 0
		.amdhsa_exception_fp_denorm_src 0
		.amdhsa_exception_fp_ieee_div_zero 0
		.amdhsa_exception_fp_ieee_overflow 0
		.amdhsa_exception_fp_ieee_underflow 0
		.amdhsa_exception_fp_ieee_inexact 0
		.amdhsa_exception_int_div_zero 0
	.end_amdhsa_kernel
	.text
.Lfunc_end16:
	.size	Transform_S_S_000_16_16_VW_1, .Lfunc_end16-Transform_S_S_000_16_16_VW_1
                                        ; -- End function
	.set Transform_S_S_000_16_16_VW_1.num_vgpr, max(42, .L__assert_fail.num_vgpr)
	.set Transform_S_S_000_16_16_VW_1.num_agpr, max(0, .L__assert_fail.num_agpr)
	.set Transform_S_S_000_16_16_VW_1.numbered_sgpr, max(33, .L__assert_fail.numbered_sgpr)
	.set Transform_S_S_000_16_16_VW_1.num_named_barrier, max(0, .L__assert_fail.num_named_barrier)
	.set Transform_S_S_000_16_16_VW_1.private_seg_size, 0+max(.L__assert_fail.private_seg_size)
	.set Transform_S_S_000_16_16_VW_1.uses_vcc, or(1, .L__assert_fail.uses_vcc)
	.set Transform_S_S_000_16_16_VW_1.uses_flat_scratch, or(1, .L__assert_fail.uses_flat_scratch)
	.set Transform_S_S_000_16_16_VW_1.has_dyn_sized_stack, or(0, .L__assert_fail.has_dyn_sized_stack)
	.set Transform_S_S_000_16_16_VW_1.has_recursion, or(0, .L__assert_fail.has_recursion)
	.set Transform_S_S_000_16_16_VW_1.has_indirect_call, or(0, .L__assert_fail.has_indirect_call)
	.section	.AMDGPU.csdata,"",@progbits
; Kernel info:
; codeLenInByte = 660
; TotalNumSgprs: 40
; NumVgprs: 42
; ScratchSize: 64
; MemoryBound: 0
; FloatMode: 240
; IeeeMode: 1
; LDSByteSize: 0 bytes/workgroup (compile time only)
; SGPRBlocks: 4
; VGPRBlocks: 10
; NumSGPRsForWavesPerEU: 40
; NumVGPRsForWavesPerEU: 42
; Occupancy: 5
; WaveLimiterHint : 1
; COMPUTE_PGM_RSRC2:SCRATCH_EN: 1
; COMPUTE_PGM_RSRC2:USER_SGPR: 8
; COMPUTE_PGM_RSRC2:TRAP_HANDLER: 0
; COMPUTE_PGM_RSRC2:TGID_X_EN: 1
; COMPUTE_PGM_RSRC2:TGID_Y_EN: 0
; COMPUTE_PGM_RSRC2:TGID_Z_EN: 1
; COMPUTE_PGM_RSRC2:TIDIG_COMP_CNT: 0
	.text
	.protected	Transform_S_S_000_16_16_VW_4 ; -- Begin function Transform_S_S_000_16_16_VW_4
	.globl	Transform_S_S_000_16_16_VW_4
	.p2align	8
	.type	Transform_S_S_000_16_16_VW_4,@function
Transform_S_S_000_16_16_VW_4:           ; @Transform_S_S_000_16_16_VW_4
; %bb.0:
	s_mov_b64 s[26:27], s[4:5]
	s_load_dword s4, s[6:7], 0x64
	s_add_u32 flat_scratch_lo, s8, s12
	s_addc_u32 flat_scratch_hi, s9, 0
	s_add_u32 s0, s0, s12
	s_addc_u32 s1, s1, 0
	s_waitcnt lgkmcnt(0)
	s_and_b32 s4, s4, 0xffff
	s_mov_b32 s35, s11
	s_mov_b32 s34, s10
	s_mov_b64 s[28:29], s[6:7]
	v_mov_b32_e32 v41, v2
	v_mov_b32_e32 v43, v1
	v_mov_b32_e32 v42, v0
	s_cmpk_eq_i32 s4, 0x100
	s_mov_b64 s[4:5], -1
	s_mov_b32 s32, 0
	s_cbranch_scc1 .LBB17_2
; %bb.1:
	s_add_u32 s8, s28, 0x58
	s_addc_u32 s9, s29, 0
	s_getpc_b64 s[4:5]
	s_add_u32 s4, s4, __PRETTY_FUNCTION__._ZN10amd_detail9transformIffLb0ELb0ELb0ELj16ELj16ELj4EEEvPT_PKS1_S4_T0_PKS5_S5_S7_jjjjjjbb@rel32@lo+4
	s_addc_u32 s5, s5, __PRETTY_FUNCTION__._ZN10amd_detail9transformIffLb0ELb0ELb0ELj16ELj16ELj4EEEvPT_PKS1_S4_T0_PKS5_S5_S7_jjjjjjbb@rel32@hi+12
	s_getpc_b64 s[6:7]
	s_add_u32 s6, s6, __assert_fail@rel32@lo+4
	s_addc_u32 s7, s7, __assert_fail@rel32@hi+12
	v_mov_b32_e32 v0, s4
	v_mov_b32_e32 v1, s5
	s_swappc_b64 s[30:31], s[6:7]
	s_mov_b64 s[4:5], 0
	; divergent unreachable
.LBB17_2:
	s_andn2_b64 vcc, exec, s[4:5]
	s_cbranch_vccnz .LBB17_54
; %bb.3:
	s_load_dwordx8 s[12:19], s[28:29], 0x38
	s_waitcnt lgkmcnt(0)
	s_lshr_b32 s6, s12, 6
	s_and_b32 s4, s12, 63
	s_cmp_lg_u32 s4, 0
	s_cselect_b64 s[4:5], -1, 0
	s_cmp_lg_u64 s[4:5], 0
	s_addc_u32 s6, s6, 0
	v_cvt_f32_u32_e32 v0, s6
	s_load_dword s8, s[28:29], 0x18
	s_load_dwordx2 s[4:5], s[28:29], 0x20
	s_sub_i32 s7, 0, s6
	v_rcp_iflag_f32_e32 v0, v0
	s_waitcnt lgkmcnt(0)
	v_mov_b32_e32 v7, s8
	v_mul_f32_e32 v0, 0x4f7ffffe, v0
	v_cvt_u32_f32_e32 v0, v0
	v_readfirstlane_b32 s9, v0
	s_mul_i32 s7, s7, s9
	s_mul_hi_u32 s7, s9, s7
	s_add_i32 s9, s9, s7
	s_mul_hi_u32 s7, s34, s9
	s_cmp_eq_u64 s[4:5], 0
	s_cbranch_scc1 .LBB17_5
; %bb.4:
	v_mov_b32_e32 v0, 0
	global_load_dword v7, v0, s[4:5]
.LBB17_5:
	s_load_dwordx2 s[4:5], s[28:29], 0x30
	s_load_dword s8, s[28:29], 0x28
	s_waitcnt lgkmcnt(0)
	s_cmp_eq_u64 s[4:5], 0
	v_mov_b32_e32 v11, s8
	s_cbranch_scc1 .LBB17_7
; %bb.6:
	v_mov_b32_e32 v0, 0
	global_load_dword v11, v0, s[4:5]
.LBB17_7:
	s_mul_i32 s4, s7, s6
	s_sub_i32 s4, s34, s4
	s_add_i32 s5, s7, 1
	s_sub_i32 s8, s4, s6
	s_cmp_ge_u32 s4, s6
	s_cselect_b32 s5, s5, s7
	s_cselect_b32 s4, s8, s4
	s_add_i32 s7, s5, 1
	s_cmp_ge_u32 s4, s6
	s_cselect_b32 s4, s7, s5
	v_lshrrev_b32_e32 v0, 4, v42
	v_lshl_add_u32 v4, s4, 4, v0
	v_cmp_gt_u32_e32 vcc, s13, v4
	s_and_saveexec_b64 s[8:9], vcc
	s_cbranch_execz .LBB17_54
; %bb.8:
	s_mul_i32 s13, s4, s6
	v_lshlrev_b32_e32 v0, 2, v42
	s_sub_i32 s4, s34, s13
	v_and_b32_e32 v8, 60, v0
	v_lshl_or_b32 v10, s4, 6, v8
	v_add_u32_e32 v12, 4, v10
	s_load_dwordx4 s[20:23], s[28:29], 0x0
	s_load_dwordx2 s[24:25], s[28:29], 0x10
	v_sub_u32_e64 v9, v12, s12 clamp
	v_sub_u32_e32 v0, v10, v9
	v_mad_u64_u32 v[1:2], s[4:5], v4, s14, v[0:1]
	s_bitcmp1_b32 s18, 0
	s_cselect_b64 vcc, -1, 0
	s_waitcnt lgkmcnt(0)
	s_cmp_lg_u64 s[22:23], 0
	s_mul_i32 s17, s17, s35
	s_cselect_b64 s[10:11], -1, 0
	s_cmp_eq_u64 s[22:23], 0
	v_mov_b32_e32 v14, 0
	v_mov_b32_e32 v13, 0
	s_cbranch_scc1 .LBB17_10
; %bb.9:
	v_mad_u64_u32 v[2:3], s[4:5], v0, s14, v[4:5]
	v_mov_b32_e32 v3, 0
	v_mov_b32_e32 v5, s23
	v_cndmask_b32_e32 v2, v1, v2, vcc
	v_add_u32_e32 v2, s17, v2
	v_lshlrev_b64 v[2:3], 2, v[2:3]
	v_add_co_u32_e64 v2, s[4:5], s22, v2
	v_addc_co_u32_e64 v3, s[4:5], v5, v3, s[4:5]
	global_load_dword v13, v[2:3], off
.LBB17_10:
	s_load_dword s6, s[28:29], 0x50
	v_mad_u64_u32 v[2:3], s[4:5], v4, s15, v[0:1]
	s_xor_b64 s[8:9], vcc, -1
	v_mul_lo_u32 v3, v0, s15
	s_waitcnt lgkmcnt(0)
	s_bitcmp1_b32 s6, 8
	s_cselect_b64 s[6:7], -1, 0
	s_cmp_lg_u64 s[24:25], 0
	s_cselect_b64 s[18:19], -1, 0
	s_cmp_eq_u64 s[24:25], 0
	s_cbranch_scc1 .LBB17_12
; %bb.11:
	v_add_u32_e32 v5, v3, v4
	v_cndmask_b32_e64 v5, v2, v5, s[6:7]
	v_add_u32_e32 v5, s17, v5
	v_mov_b32_e32 v6, 0
	v_lshlrev_b64 v[5:6], 2, v[5:6]
	v_mov_b32_e32 v14, s25
	v_add_co_u32_e32 v5, vcc, s24, v5
	v_addc_co_u32_e32 v6, vcc, v14, v6, vcc
	global_load_dword v14, v[5:6], off
.LBB17_12:
	v_cndmask_b32_e64 v5, 0, 1, s[8:9]
	v_cmp_ne_u32_e64 s[4:5], 1, v5
	s_andn2_b64 vcc, exec, s[8:9]
	s_cbranch_vccnz .LBB17_14
; %bb.13:
	v_add_u32_e32 v5, 1, v1
	s_xor_b64 s[8:9], s[6:7], -1
	s_cbranch_execz .LBB17_15
	s_branch .LBB17_16
.LBB17_14:
                                        ; implicit-def: $vgpr5
	s_xor_b64 s[8:9], s[6:7], -1
.LBB17_15:
	v_mul_lo_u32 v5, s14, v0
	v_add3_u32 v5, v5, s14, v4
.LBB17_16:
	v_cndmask_b32_e64 v6, 0, 1, s[8:9]
	v_cmp_ne_u32_e64 s[6:7], 1, v6
	s_andn2_b64 vcc, exec, s[8:9]
	s_cbranch_vccnz .LBB17_18
; %bb.17:
	v_add_u32_e32 v6, 1, v2
	s_cbranch_execz .LBB17_19
	s_branch .LBB17_20
.LBB17_18:
                                        ; implicit-def: $vgpr6
.LBB17_19:
	v_add3_u32 v6, v3, s15, v4
.LBB17_20:
	v_cndmask_b32_e64 v15, 0, 1, s[10:11]
	v_mov_b32_e32 v16, 0
	v_cmp_ne_u32_e64 s[8:9], 1, v15
	s_andn2_b64 vcc, exec, s[10:11]
	v_mov_b32_e32 v15, 0
	s_cbranch_vccnz .LBB17_22
; %bb.21:
	v_add_u32_e32 v17, s17, v5
	v_mov_b32_e32 v18, 0
	v_lshlrev_b64 v[17:18], 2, v[17:18]
	v_mov_b32_e32 v5, s23
	v_add_co_u32_e32 v17, vcc, s22, v17
	v_addc_co_u32_e32 v18, vcc, v5, v18, vcc
	global_load_dword v15, v[17:18], off
.LBB17_22:
	v_cndmask_b32_e64 v5, 0, 1, s[18:19]
	v_cmp_ne_u32_e64 s[10:11], 1, v5
	s_andn2_b64 vcc, exec, s[18:19]
	s_cbranch_vccnz .LBB17_24
; %bb.23:
	v_add_u32_e32 v5, s17, v6
	v_mov_b32_e32 v6, 0
	v_lshlrev_b64 v[5:6], 2, v[5:6]
	v_mov_b32_e32 v16, s25
	v_add_co_u32_e32 v5, vcc, s24, v5
	v_addc_co_u32_e32 v6, vcc, v16, v6, vcc
	global_load_dword v16, v[5:6], off
.LBB17_24:
	s_and_b64 vcc, exec, s[4:5]
	s_cbranch_vccnz .LBB17_26
; %bb.25:
	v_add_u32_e32 v5, 2, v1
	s_cbranch_execz .LBB17_27
	s_branch .LBB17_28
.LBB17_26:
                                        ; implicit-def: $vgpr5
.LBB17_27:
	v_add_u32_e32 v5, 2, v0
	v_mad_u64_u32 v[5:6], s[18:19], v5, s14, v[4:5]
.LBB17_28:
	s_and_b64 vcc, exec, s[6:7]
	s_cbranch_vccnz .LBB17_30
; %bb.29:
	v_add_u32_e32 v6, 2, v2
	s_cbranch_execz .LBB17_31
	s_branch .LBB17_32
.LBB17_30:
                                        ; implicit-def: $vgpr6
.LBB17_31:
	s_lshl_b32 s18, s15, 1
	v_add3_u32 v6, v3, s18, v4
.LBB17_32:
	v_mov_b32_e32 v18, 0
	s_and_b64 vcc, exec, s[8:9]
	v_mov_b32_e32 v17, 0
	s_cbranch_vccnz .LBB17_34
; %bb.33:
	v_add_u32_e32 v19, s17, v5
	v_mov_b32_e32 v20, 0
	v_lshlrev_b64 v[19:20], 2, v[19:20]
	v_mov_b32_e32 v5, s23
	v_add_co_u32_e32 v19, vcc, s22, v19
	v_addc_co_u32_e32 v20, vcc, v5, v20, vcc
	global_load_dword v17, v[19:20], off
.LBB17_34:
	s_and_b64 vcc, exec, s[10:11]
	s_cbranch_vccnz .LBB17_36
; %bb.35:
	v_add_u32_e32 v5, s17, v6
	v_mov_b32_e32 v6, 0
	v_lshlrev_b64 v[5:6], 2, v[5:6]
	v_mov_b32_e32 v18, s25
	v_add_co_u32_e32 v5, vcc, s24, v5
	v_addc_co_u32_e32 v6, vcc, v18, v6, vcc
	global_load_dword v18, v[5:6], off
.LBB17_36:
	s_and_b64 vcc, exec, s[4:5]
	s_cbranch_vccnz .LBB17_38
; %bb.37:
	v_add_u32_e32 v5, 3, v1
	s_cbranch_execz .LBB17_39
	s_branch .LBB17_40
.LBB17_38:
                                        ; implicit-def: $vgpr5
.LBB17_39:
	v_add_u32_e32 v0, 3, v0
	v_mad_u64_u32 v[5:6], s[4:5], v0, s14, v[4:5]
.LBB17_40:
	s_and_b64 vcc, exec, s[6:7]
	s_cbranch_vccnz .LBB17_42
; %bb.41:
	v_add_u32_e32 v0, 3, v2
	s_cbranch_execz .LBB17_43
	s_branch .LBB17_44
.LBB17_42:
                                        ; implicit-def: $vgpr0
.LBB17_43:
	s_mul_i32 s4, s15, 3
	v_add3_u32 v0, v3, s4, v4
.LBB17_44:
	v_mov_b32_e32 v3, 0
	s_and_b64 vcc, exec, s[8:9]
	v_mov_b32_e32 v6, 0
	s_cbranch_vccnz .LBB17_46
; %bb.45:
	v_add_u32_e32 v1, s17, v5
	v_mov_b32_e32 v2, 0
	v_lshlrev_b64 v[1:2], 2, v[1:2]
	v_mov_b32_e32 v5, s23
	v_add_co_u32_e32 v1, vcc, s22, v1
	v_addc_co_u32_e32 v2, vcc, v5, v2, vcc
	global_load_dword v6, v[1:2], off
.LBB17_46:
	s_and_b64 vcc, exec, s[10:11]
	s_cbranch_vccnz .LBB17_48
; %bb.47:
	v_add_u32_e32 v0, s17, v0
	v_mov_b32_e32 v1, 0
	v_lshlrev_b64 v[0:1], 2, v[0:1]
	v_mov_b32_e32 v2, s25
	v_add_co_u32_e32 v0, vcc, s24, v0
	v_addc_co_u32_e32 v1, vcc, v2, v1, vcc
	global_load_dword v3, v[0:1], off
.LBB17_48:
	s_load_dwordx2 s[4:5], s[26:27], 0x4
	v_mul_lo_u32 v4, v4, s16
	s_waitcnt vmcnt(0)
	v_mul_f32_e32 v0, v11, v14
	v_mul_f32_e32 v1, v11, v16
	;; [unrolled: 1-line block ×3, first 2 shown]
	s_waitcnt lgkmcnt(0)
	s_lshr_b32 s4, s4, 16
	s_mul_i32 s4, s4, s5
	v_mul_lo_u32 v5, s4, v42
	v_mul_f32_e32 v3, v11, v3
	v_fmac_f32_e32 v0, v7, v13
	v_fmac_f32_e32 v1, v7, v15
	v_mad_u32_u24 v11, v43, s5, v5
	v_fmac_f32_e32 v2, v7, v17
	v_add_lshl_u32 v11, v11, v41, 4
	v_fmac_f32_e32 v3, v7, v6
	v_cmp_ge_u32_e32 vcc, s12, v12
	ds_write_b128 v11, v[0:3]
	s_and_saveexec_b64 s[6:7], vcc
	s_xor_b64 s[6:7], exec, s[6:7]
	s_cbranch_execz .LBB17_50
; %bb.49:
	v_add_u32_e32 v5, s17, v10
	v_sub_u32_e32 v5, v5, v9
	v_add_u32_e32 v4, v5, v4
	v_mov_b32_e32 v5, 0
	v_lshlrev_b64 v[6:7], 2, v[4:5]
	v_mov_b32_e32 v8, s21
	v_add_co_u32_e32 v6, vcc, s20, v6
	v_addc_co_u32_e32 v7, vcc, v8, v7, vcc
	global_store_dword v[6:7], v0, off
	v_add_u32_e32 v6, 1, v4
	v_mov_b32_e32 v7, v5
	v_lshlrev_b64 v[6:7], 2, v[6:7]
	v_mov_b32_e32 v0, s21
	v_add_co_u32_e32 v6, vcc, s20, v6
	v_addc_co_u32_e32 v7, vcc, v0, v7, vcc
	global_store_dword v[6:7], v1, off
	v_add_u32_e32 v0, 2, v4
	v_mov_b32_e32 v1, v5
	v_lshlrev_b64 v[0:1], 2, v[0:1]
	v_mov_b32_e32 v6, s21
	v_add_co_u32_e32 v0, vcc, s20, v0
	v_addc_co_u32_e32 v1, vcc, v6, v1, vcc
	v_add_u32_e32 v4, 3, v4
	global_store_dword v[0:1], v2, off
	v_lshlrev_b64 v[0:1], 2, v[4:5]
	v_mov_b32_e32 v2, s21
	v_add_co_u32_e32 v0, vcc, s20, v0
	v_addc_co_u32_e32 v1, vcc, v2, v1, vcc
	global_store_dword v[0:1], v3, off
                                        ; implicit-def: $vgpr9
                                        ; implicit-def: $vgpr43
                                        ; implicit-def: $vgpr8
                                        ; implicit-def: $vgpr4
                                        ; implicit-def: $vgpr41
                                        ; implicit-def: $vgpr5
                                        ; implicit-def: $vgpr42
.LBB17_50:
	s_andn2_saveexec_b64 s[6:7], s[6:7]
	s_cbranch_execz .LBB17_54
; %bb.51:
	v_cmp_gt_u32_e32 vcc, 4, v9
	s_and_b64 exec, exec, vcc
	s_cbranch_execz .LBB17_54
; %bb.52:
	v_mul_u32_u24_e32 v1, s5, v43
	v_lshl_or_b32 v0, s34, 6, v8
	s_lshl_b32 s4, s13, 6
	v_subrev_u32_e32 v2, s4, v0
	v_add3_u32 v0, s17, v4, v0
	v_add3_u32 v1, v1, v41, v5
	v_and_b32_e32 v4, 15, v42
	v_add_u32_e32 v3, 4, v2
	v_add_lshl_u32 v1, v1, v4, 4
	v_min_u32_e32 v3, s12, v3
	v_subrev_u32_e32 v0, s4, v0
	v_lshl_add_u32 v1, s34, 8, v1
	s_lshl_b32 s4, s13, 8
	v_sub_u32_e32 v2, v2, v3
	v_subrev_u32_e32 v1, s4, v1
	v_lshlrev_b32_e32 v3, 2, v3
	v_sub_u32_e32 v1, v1, v3
	v_add_u32_e32 v2, 3, v2
	v_add_u32_e32 v3, 16, v1
	s_mov_b64 s[6:7], 0
	v_mov_b32_e32 v1, 0
	v_mov_b32_e32 v4, s21
.LBB17_53:                              ; =>This Inner Loop Header: Depth=1
	ds_read_b32 v7, v3
	v_lshlrev_b64 v[5:6], 2, v[0:1]
	v_add_u32_e32 v2, 1, v2
	v_cmp_lt_u32_e32 vcc, 2, v2
	v_add_co_u32_e64 v5, s[4:5], s20, v5
	v_add_u32_e32 v0, 1, v0
	v_add_u32_e32 v3, 4, v3
	v_addc_co_u32_e64 v6, s[4:5], v4, v6, s[4:5]
	s_or_b64 s[6:7], vcc, s[6:7]
	s_waitcnt lgkmcnt(0)
	global_store_dword v[5:6], v7, off
	s_andn2_b64 exec, exec, s[6:7]
	s_cbranch_execnz .LBB17_53
.LBB17_54:
	s_endpgm
	.section	.rodata,"a",@progbits
	.p2align	6, 0x0
	.amdhsa_kernel Transform_S_S_000_16_16_VW_4
		.amdhsa_group_segment_fixed_size 16384
		.amdhsa_private_segment_fixed_size 64
		.amdhsa_kernarg_size 344
		.amdhsa_user_sgpr_count 10
		.amdhsa_user_sgpr_private_segment_buffer 1
		.amdhsa_user_sgpr_dispatch_ptr 1
		.amdhsa_user_sgpr_queue_ptr 0
		.amdhsa_user_sgpr_kernarg_segment_ptr 1
		.amdhsa_user_sgpr_dispatch_id 0
		.amdhsa_user_sgpr_flat_scratch_init 1
		.amdhsa_user_sgpr_private_segment_size 0
		.amdhsa_uses_dynamic_stack 0
		.amdhsa_system_sgpr_private_segment_wavefront_offset 1
		.amdhsa_system_sgpr_workgroup_id_x 1
		.amdhsa_system_sgpr_workgroup_id_y 0
		.amdhsa_system_sgpr_workgroup_id_z 1
		.amdhsa_system_sgpr_workgroup_info 0
		.amdhsa_system_vgpr_workitem_id 2
		.amdhsa_next_free_vgpr 44
		.amdhsa_next_free_sgpr 36
		.amdhsa_reserve_vcc 1
		.amdhsa_reserve_flat_scratch 1
		.amdhsa_float_round_mode_32 0
		.amdhsa_float_round_mode_16_64 0
		.amdhsa_float_denorm_mode_32 3
		.amdhsa_float_denorm_mode_16_64 3
		.amdhsa_dx10_clamp 1
		.amdhsa_ieee_mode 1
		.amdhsa_fp16_overflow 0
		.amdhsa_exception_fp_ieee_invalid_op 0
		.amdhsa_exception_fp_denorm_src 0
		.amdhsa_exception_fp_ieee_div_zero 0
		.amdhsa_exception_fp_ieee_overflow 0
		.amdhsa_exception_fp_ieee_underflow 0
		.amdhsa_exception_fp_ieee_inexact 0
		.amdhsa_exception_int_div_zero 0
	.end_amdhsa_kernel
	.text
.Lfunc_end17:
	.size	Transform_S_S_000_16_16_VW_4, .Lfunc_end17-Transform_S_S_000_16_16_VW_4
                                        ; -- End function
	.set Transform_S_S_000_16_16_VW_4.num_vgpr, max(44, .L__assert_fail.num_vgpr)
	.set Transform_S_S_000_16_16_VW_4.num_agpr, max(0, .L__assert_fail.num_agpr)
	.set Transform_S_S_000_16_16_VW_4.numbered_sgpr, max(36, .L__assert_fail.numbered_sgpr)
	.set Transform_S_S_000_16_16_VW_4.num_named_barrier, max(0, .L__assert_fail.num_named_barrier)
	.set Transform_S_S_000_16_16_VW_4.private_seg_size, 0+max(.L__assert_fail.private_seg_size)
	.set Transform_S_S_000_16_16_VW_4.uses_vcc, or(1, .L__assert_fail.uses_vcc)
	.set Transform_S_S_000_16_16_VW_4.uses_flat_scratch, or(1, .L__assert_fail.uses_flat_scratch)
	.set Transform_S_S_000_16_16_VW_4.has_dyn_sized_stack, or(0, .L__assert_fail.has_dyn_sized_stack)
	.set Transform_S_S_000_16_16_VW_4.has_recursion, or(0, .L__assert_fail.has_recursion)
	.set Transform_S_S_000_16_16_VW_4.has_indirect_call, or(0, .L__assert_fail.has_indirect_call)
	.section	.AMDGPU.csdata,"",@progbits
; Kernel info:
; codeLenInByte = 1668
; TotalNumSgprs: 42
; NumVgprs: 44
; ScratchSize: 64
; MemoryBound: 0
; FloatMode: 240
; IeeeMode: 1
; LDSByteSize: 16384 bytes/workgroup (compile time only)
; SGPRBlocks: 5
; VGPRBlocks: 10
; NumSGPRsForWavesPerEU: 42
; NumVGPRsForWavesPerEU: 44
; Occupancy: 5
; WaveLimiterHint : 1
; COMPUTE_PGM_RSRC2:SCRATCH_EN: 1
; COMPUTE_PGM_RSRC2:USER_SGPR: 10
; COMPUTE_PGM_RSRC2:TRAP_HANDLER: 0
; COMPUTE_PGM_RSRC2:TGID_X_EN: 1
; COMPUTE_PGM_RSRC2:TGID_Y_EN: 0
; COMPUTE_PGM_RSRC2:TGID_Z_EN: 1
; COMPUTE_PGM_RSRC2:TIDIG_COMP_CNT: 2
	.text
	.protected	Transform_H_H_111_16_16_VW_1 ; -- Begin function Transform_H_H_111_16_16_VW_1
	.globl	Transform_H_H_111_16_16_VW_1
	.p2align	8
	.type	Transform_H_H_111_16_16_VW_1,@function
Transform_H_H_111_16_16_VW_1:           ; @Transform_H_H_111_16_16_VW_1
; %bb.0:
	s_mov_b64 s[26:27], s[4:5]
	s_load_dword s4, s[4:5], 0x64
	s_add_u32 flat_scratch_lo, s6, s10
	s_addc_u32 flat_scratch_hi, s7, 0
	s_add_u32 s0, s0, s10
	s_addc_u32 s1, s1, 0
	s_waitcnt lgkmcnt(0)
	s_and_b32 s4, s4, 0xffff
	s_mov_b32 s28, s9
	s_mov_b32 s29, s8
	v_mov_b32_e32 v41, v0
	s_cmpk_eq_i32 s4, 0x100
	s_mov_b64 s[4:5], -1
	s_mov_b32 s32, 0
	s_cbranch_scc1 .LBB18_2
; %bb.1:
	s_add_u32 s8, s26, 0x58
	s_addc_u32 s9, s27, 0
	s_getpc_b64 s[4:5]
	s_add_u32 s4, s4, __PRETTY_FUNCTION__._ZN10amd_detail9transformIDF16_DF16_Lb1ELb1ELb1ELj16ELj16ELj1EEEvPT_PKS1_S4_T0_PKS5_S5_S7_jjjjjjbb@rel32@lo+4
	s_addc_u32 s5, s5, __PRETTY_FUNCTION__._ZN10amd_detail9transformIDF16_DF16_Lb1ELb1ELb1ELj16ELj16ELj1EEEvPT_PKS1_S4_T0_PKS5_S5_S7_jjjjjjbb@rel32@hi+12
	s_getpc_b64 s[6:7]
	s_add_u32 s6, s6, __assert_fail@rel32@lo+4
	s_addc_u32 s7, s7, __assert_fail@rel32@hi+12
	v_mov_b32_e32 v0, s4
	v_mov_b32_e32 v1, s5
	s_swappc_b64 s[30:31], s[6:7]
	s_mov_b64 s[4:5], 0
	; divergent unreachable
.LBB18_2:
	s_andn2_b64 vcc, exec, s[4:5]
	s_cbranch_vccnz .LBB18_13
; %bb.3:
	s_load_dwordx8 s[4:11], s[26:27], 0x38
	s_waitcnt lgkmcnt(0)
	s_lshr_b32 s11, s4, 4
	s_and_b32 s12, s4, 15
	s_cmp_lg_u32 s12, 0
	s_cselect_b64 s[12:13], -1, 0
	s_cmp_lg_u64 s[12:13], 0
	s_addc_u32 s11, s11, 0
	v_cvt_f32_u32_e32 v0, s11
	s_load_dword s15, s[26:27], 0x18
	s_load_dwordx2 s[12:13], s[26:27], 0x20
	s_sub_i32 s14, 0, s11
	v_rcp_iflag_f32_e32 v0, v0
	v_mul_f32_e32 v0, 0x4f7ffffe, v0
	v_cvt_u32_f32_e32 v0, v0
	v_readfirstlane_b32 s16, v0
	s_mul_i32 s14, s14, s16
	s_mul_hi_u32 s14, s16, s14
	s_add_i32 s16, s16, s14
	s_mul_hi_u32 s14, s29, s16
	s_waitcnt lgkmcnt(0)
	s_cmp_eq_u64 s[12:13], 0
	v_mov_b32_e32 v0, s15
	s_cbranch_scc1 .LBB18_5
; %bb.4:
	v_mov_b32_e32 v0, 0
	global_load_ushort v0, v0, s[12:13]
.LBB18_5:
	s_load_dwordx2 s[12:13], s[26:27], 0x30
	s_load_dword s15, s[26:27], 0x28
	s_waitcnt lgkmcnt(0)
	s_cmp_eq_u64 s[12:13], 0
	v_mov_b32_e32 v1, s15
	s_cbranch_scc1 .LBB18_7
; %bb.6:
	v_mov_b32_e32 v1, 0
	global_load_ushort v1, v1, s[12:13]
.LBB18_7:
	s_mul_i32 s12, s14, s11
	s_sub_i32 s12, s29, s12
	s_add_i32 s13, s14, 1
	s_sub_i32 s15, s12, s11
	s_cmp_ge_u32 s12, s11
	s_cselect_b32 s13, s13, s14
	s_cselect_b32 s12, s15, s12
	s_add_i32 s14, s13, 1
	s_cmp_ge_u32 s12, s11
	s_cselect_b32 s12, s14, s13
	s_mul_i32 s11, s12, s11
	s_sub_i32 s11, s29, s11
	v_and_b32_e32 v2, 15, v41
	v_lshrrev_b32_e32 v4, 4, v41
	v_lshl_or_b32 v3, s11, 4, v2
	v_lshl_add_u32 v2, s12, 4, v4
	v_cmp_gt_u32_e32 vcc, s4, v3
	v_cmp_gt_u32_e64 s[4:5], s5, v2
	s_and_b64 s[4:5], vcc, s[4:5]
	s_and_saveexec_b64 s[12:13], s[4:5]
	s_cbranch_execz .LBB18_13
; %bb.8:
	s_load_dwordx4 s[12:15], s[26:27], 0x0
	s_load_dwordx2 s[4:5], s[26:27], 0x10
	s_mul_i32 s9, s9, s28
	v_mov_b32_e32 v5, 0
	v_mov_b32_e32 v4, 0
	s_waitcnt lgkmcnt(0)
	s_cmp_eq_u64 s[14:15], 0
	s_cbranch_scc1 .LBB18_10
; %bb.9:
	s_bitcmp1_b32 s10, 0
	s_cselect_b64 vcc, -1, 0
	v_cndmask_b32_e32 v4, v3, v2, vcc
	v_mul_lo_u32 v4, v4, s6
	v_cndmask_b32_e32 v6, v2, v3, vcc
	v_mov_b32_e32 v7, 0
	v_add3_u32 v6, v6, s9, v4
	v_lshlrev_b64 v[6:7], 1, v[6:7]
	v_mov_b32_e32 v4, s15
	v_add_co_u32_e32 v6, vcc, s14, v6
	v_addc_co_u32_e32 v7, vcc, v4, v7, vcc
	global_load_ushort v4, v[6:7], off
.LBB18_10:
	s_cmp_eq_u64 s[4:5], 0
	s_cbranch_scc1 .LBB18_12
; %bb.11:
	s_load_dword s6, s[26:27], 0x50
	v_mov_b32_e32 v6, 0
	v_mov_b32_e32 v7, s5
	s_waitcnt lgkmcnt(0)
	s_bitcmp1_b32 s6, 8
	s_cselect_b64 vcc, -1, 0
	v_cndmask_b32_e32 v5, v3, v2, vcc
	v_mul_lo_u32 v5, v5, s7
	v_cndmask_b32_e32 v8, v2, v3, vcc
	v_add3_u32 v5, v8, s9, v5
	v_lshlrev_b64 v[5:6], 1, v[5:6]
	v_add_co_u32_e32 v5, vcc, s4, v5
	v_addc_co_u32_e32 v6, vcc, v7, v6, vcc
	global_load_ushort v5, v[5:6], off
.LBB18_12:
	v_mul_lo_u32 v3, v3, s8
	s_waitcnt vmcnt(0)
	v_mul_f16_e32 v5, v1, v5
	v_mov_b32_e32 v1, 0
	v_fma_f16 v4, v0, v4, v5
	v_add3_u32 v0, v2, s9, v3
	v_lshlrev_b64 v[0:1], 1, v[0:1]
	v_mov_b32_e32 v2, s13
	v_add_co_u32_e32 v0, vcc, s12, v0
	v_addc_co_u32_e32 v1, vcc, v2, v1, vcc
	global_store_short v[0:1], v4, off
.LBB18_13:
	s_endpgm
	.section	.rodata,"a",@progbits
	.p2align	6, 0x0
	.amdhsa_kernel Transform_H_H_111_16_16_VW_1
		.amdhsa_group_segment_fixed_size 0
		.amdhsa_private_segment_fixed_size 64
		.amdhsa_kernarg_size 344
		.amdhsa_user_sgpr_count 8
		.amdhsa_user_sgpr_private_segment_buffer 1
		.amdhsa_user_sgpr_dispatch_ptr 0
		.amdhsa_user_sgpr_queue_ptr 0
		.amdhsa_user_sgpr_kernarg_segment_ptr 1
		.amdhsa_user_sgpr_dispatch_id 0
		.amdhsa_user_sgpr_flat_scratch_init 1
		.amdhsa_user_sgpr_private_segment_size 0
		.amdhsa_uses_dynamic_stack 0
		.amdhsa_system_sgpr_private_segment_wavefront_offset 1
		.amdhsa_system_sgpr_workgroup_id_x 1
		.amdhsa_system_sgpr_workgroup_id_y 0
		.amdhsa_system_sgpr_workgroup_id_z 1
		.amdhsa_system_sgpr_workgroup_info 0
		.amdhsa_system_vgpr_workitem_id 0
		.amdhsa_next_free_vgpr 42
		.amdhsa_next_free_sgpr 34
		.amdhsa_reserve_vcc 1
		.amdhsa_reserve_flat_scratch 1
		.amdhsa_float_round_mode_32 0
		.amdhsa_float_round_mode_16_64 0
		.amdhsa_float_denorm_mode_32 3
		.amdhsa_float_denorm_mode_16_64 3
		.amdhsa_dx10_clamp 1
		.amdhsa_ieee_mode 1
		.amdhsa_fp16_overflow 0
		.amdhsa_exception_fp_ieee_invalid_op 0
		.amdhsa_exception_fp_denorm_src 0
		.amdhsa_exception_fp_ieee_div_zero 0
		.amdhsa_exception_fp_ieee_overflow 0
		.amdhsa_exception_fp_ieee_underflow 0
		.amdhsa_exception_fp_ieee_inexact 0
		.amdhsa_exception_int_div_zero 0
	.end_amdhsa_kernel
	.text
.Lfunc_end18:
	.size	Transform_H_H_111_16_16_VW_1, .Lfunc_end18-Transform_H_H_111_16_16_VW_1
                                        ; -- End function
	.set Transform_H_H_111_16_16_VW_1.num_vgpr, max(42, .L__assert_fail.num_vgpr)
	.set Transform_H_H_111_16_16_VW_1.num_agpr, max(0, .L__assert_fail.num_agpr)
	.set Transform_H_H_111_16_16_VW_1.numbered_sgpr, max(33, .L__assert_fail.numbered_sgpr)
	.set Transform_H_H_111_16_16_VW_1.num_named_barrier, max(0, .L__assert_fail.num_named_barrier)
	.set Transform_H_H_111_16_16_VW_1.private_seg_size, 0+max(.L__assert_fail.private_seg_size)
	.set Transform_H_H_111_16_16_VW_1.uses_vcc, or(1, .L__assert_fail.uses_vcc)
	.set Transform_H_H_111_16_16_VW_1.uses_flat_scratch, or(1, .L__assert_fail.uses_flat_scratch)
	.set Transform_H_H_111_16_16_VW_1.has_dyn_sized_stack, or(0, .L__assert_fail.has_dyn_sized_stack)
	.set Transform_H_H_111_16_16_VW_1.has_recursion, or(0, .L__assert_fail.has_recursion)
	.set Transform_H_H_111_16_16_VW_1.has_indirect_call, or(0, .L__assert_fail.has_indirect_call)
	.section	.AMDGPU.csdata,"",@progbits
; Kernel info:
; codeLenInByte = 664
; TotalNumSgprs: 40
; NumVgprs: 42
; ScratchSize: 64
; MemoryBound: 0
; FloatMode: 240
; IeeeMode: 1
; LDSByteSize: 0 bytes/workgroup (compile time only)
; SGPRBlocks: 4
; VGPRBlocks: 10
; NumSGPRsForWavesPerEU: 40
; NumVGPRsForWavesPerEU: 42
; Occupancy: 5
; WaveLimiterHint : 1
; COMPUTE_PGM_RSRC2:SCRATCH_EN: 1
; COMPUTE_PGM_RSRC2:USER_SGPR: 8
; COMPUTE_PGM_RSRC2:TRAP_HANDLER: 0
; COMPUTE_PGM_RSRC2:TGID_X_EN: 1
; COMPUTE_PGM_RSRC2:TGID_Y_EN: 0
; COMPUTE_PGM_RSRC2:TGID_Z_EN: 1
; COMPUTE_PGM_RSRC2:TIDIG_COMP_CNT: 0
	.text
	.protected	Transform_H_H_111_16_16_VW_4 ; -- Begin function Transform_H_H_111_16_16_VW_4
	.globl	Transform_H_H_111_16_16_VW_4
	.p2align	8
	.type	Transform_H_H_111_16_16_VW_4,@function
Transform_H_H_111_16_16_VW_4:           ; @Transform_H_H_111_16_16_VW_4
; %bb.0:
	s_mov_b64 s[26:27], s[4:5]
	s_load_dword s4, s[4:5], 0x64
	s_add_u32 flat_scratch_lo, s6, s10
	s_addc_u32 flat_scratch_hi, s7, 0
	s_add_u32 s0, s0, s10
	s_addc_u32 s1, s1, 0
	s_waitcnt lgkmcnt(0)
	s_and_b32 s4, s4, 0xffff
	s_mov_b32 s29, s9
	s_mov_b32 s28, s8
	v_mov_b32_e32 v41, v0
	s_cmpk_eq_i32 s4, 0x100
	s_mov_b64 s[4:5], -1
	s_mov_b32 s32, 0
	s_cbranch_scc1 .LBB19_2
; %bb.1:
	s_add_u32 s8, s26, 0x58
	s_addc_u32 s9, s27, 0
	s_getpc_b64 s[4:5]
	s_add_u32 s4, s4, __PRETTY_FUNCTION__._ZN10amd_detail9transformIDF16_DF16_Lb1ELb1ELb1ELj16ELj16ELj4EEEvPT_PKS1_S4_T0_PKS5_S5_S7_jjjjjjbb@rel32@lo+4
	s_addc_u32 s5, s5, __PRETTY_FUNCTION__._ZN10amd_detail9transformIDF16_DF16_Lb1ELb1ELb1ELj16ELj16ELj4EEEvPT_PKS1_S4_T0_PKS5_S5_S7_jjjjjjbb@rel32@hi+12
	s_getpc_b64 s[6:7]
	s_add_u32 s6, s6, __assert_fail@rel32@lo+4
	s_addc_u32 s7, s7, __assert_fail@rel32@hi+12
	v_mov_b32_e32 v0, s4
	v_mov_b32_e32 v1, s5
	s_swappc_b64 s[30:31], s[6:7]
	s_mov_b64 s[4:5], 0
	; divergent unreachable
.LBB19_2:
	s_andn2_b64 vcc, exec, s[4:5]
	s_cbranch_vccnz .LBB19_54
; %bb.3:
	s_load_dwordx4 s[12:15], s[26:27], 0x38
	s_waitcnt lgkmcnt(0)
	s_lshr_b32 s6, s12, 4
	s_and_b32 s4, s12, 15
	s_cmp_lg_u32 s4, 0
	s_cselect_b64 s[4:5], -1, 0
	s_cmp_lg_u64 s[4:5], 0
	s_addc_u32 s6, s6, 0
	v_cvt_f32_u32_e32 v0, s6
	s_load_dword s8, s[26:27], 0x18
	s_load_dwordx2 s[4:5], s[26:27], 0x20
	s_sub_i32 s7, 0, s6
	v_rcp_iflag_f32_e32 v0, v0
	s_waitcnt lgkmcnt(0)
	v_mov_b32_e32 v10, s8
	v_mul_f32_e32 v0, 0x4f7ffffe, v0
	v_cvt_u32_f32_e32 v0, v0
	v_readfirstlane_b32 s9, v0
	s_mul_i32 s7, s7, s9
	s_mul_hi_u32 s7, s9, s7
	s_add_i32 s9, s9, s7
	s_mul_hi_u32 s7, s28, s9
	s_cmp_eq_u64 s[4:5], 0
	s_cbranch_scc1 .LBB19_5
; %bb.4:
	v_mov_b32_e32 v0, 0
	global_load_ushort v10, v0, s[4:5]
.LBB19_5:
	s_load_dwordx2 s[4:5], s[26:27], 0x30
	s_load_dword s8, s[26:27], 0x28
	s_waitcnt lgkmcnt(0)
	s_cmp_eq_u64 s[4:5], 0
	v_mov_b32_e32 v12, s8
	s_cbranch_scc1 .LBB19_7
; %bb.6:
	v_mov_b32_e32 v0, 0
	global_load_ushort v12, v0, s[4:5]
.LBB19_7:
	s_mul_i32 s4, s7, s6
	s_sub_i32 s4, s28, s4
	s_add_i32 s5, s7, 1
	s_sub_i32 s8, s4, s6
	s_cmp_ge_u32 s4, s6
	s_cselect_b32 s5, s5, s7
	s_cselect_b32 s4, s8, s4
	s_add_i32 s7, s5, 1
	s_cmp_ge_u32 s4, s6
	s_cselect_b32 s4, s7, s5
	s_mul_i32 s30, s4, s6
	s_sub_i32 s5, s28, s30
	v_and_b32_e32 v8, 15, v41
	v_lshl_or_b32 v1, s5, 4, v8
	v_cmp_gt_u32_e32 vcc, s12, v1
	s_and_saveexec_b64 s[6:7], vcc
	s_cbranch_execz .LBB19_54
; %bb.8:
	v_lshrrev_b32_e32 v0, 2, v41
	s_lshl_b32 s12, s4, 6
	v_and_b32_e32 v9, 0xfc, v0
	s_load_dwordx4 s[20:23], s[26:27], 0x48
	v_add_u32_e32 v7, s12, v9
	v_add_u32_e32 v11, 4, v7
	v_sub_u32_e64 v0, v11, s13 clamp
	s_load_dwordx4 s[16:19], s[26:27], 0x0
	s_load_dwordx2 s[24:25], s[26:27], 0x10
	v_sub_u32_e32 v2, v7, v0
	v_mad_u64_u32 v[3:4], s[4:5], v1, s14, v[2:3]
	s_waitcnt lgkmcnt(0)
	s_bitcmp1_b32 s22, 0
	s_cselect_b64 vcc, -1, 0
	s_cmp_lg_u64 s[18:19], 0
	s_mul_i32 s21, s21, s29
	s_cselect_b64 s[10:11], -1, 0
	s_cmp_eq_u64 s[18:19], 0
	v_mov_b32_e32 v13, 0
	v_mov_b32_e32 v14, 0
	s_cbranch_scc1 .LBB19_10
; %bb.9:
	v_mad_u64_u32 v[4:5], s[4:5], v2, s14, v[1:2]
	v_mov_b32_e32 v5, 0
	v_mov_b32_e32 v6, s19
	v_cndmask_b32_e32 v4, v3, v4, vcc
	v_add_u32_e32 v4, s21, v4
	v_lshlrev_b64 v[4:5], 1, v[4:5]
	v_add_co_u32_e64 v4, s[4:5], s18, v4
	v_addc_co_u32_e64 v5, s[4:5], v6, v5, s[4:5]
	global_load_ushort v14, v[4:5], off
.LBB19_10:
	s_load_dword s6, s[26:27], 0x50
	s_xor_b64 s[8:9], vcc, -1
	v_mad_u64_u32 v[4:5], s[4:5], v1, s15, v[2:3]
	v_mul_lo_u32 v15, v2, s15
	s_waitcnt lgkmcnt(0)
	s_bitcmp1_b32 s6, 8
	s_cselect_b64 s[6:7], -1, 0
	s_cmp_lg_u64 s[24:25], 0
	s_cselect_b64 s[22:23], -1, 0
	s_cmp_eq_u64 s[24:25], 0
	s_cbranch_scc1 .LBB19_12
; %bb.11:
	v_add_u32_e32 v5, v15, v1
	v_cndmask_b32_e64 v5, v4, v5, s[6:7]
	v_add_u32_e32 v5, s21, v5
	v_mov_b32_e32 v6, 0
	v_lshlrev_b64 v[5:6], 1, v[5:6]
	v_mov_b32_e32 v13, s25
	v_add_co_u32_e32 v5, vcc, s24, v5
	v_addc_co_u32_e32 v6, vcc, v13, v6, vcc
	global_load_ushort v13, v[5:6], off
.LBB19_12:
	v_cndmask_b32_e64 v5, 0, 1, s[8:9]
	v_cmp_ne_u32_e64 s[4:5], 1, v5
	s_andn2_b64 vcc, exec, s[8:9]
	s_cbranch_vccnz .LBB19_14
; %bb.13:
	v_add_u32_e32 v5, 1, v3
	s_xor_b64 s[8:9], s[6:7], -1
	s_cbranch_execz .LBB19_15
	s_branch .LBB19_16
.LBB19_14:
                                        ; implicit-def: $vgpr5
	s_xor_b64 s[8:9], s[6:7], -1
.LBB19_15:
	v_mul_lo_u32 v5, s14, v2
	v_add3_u32 v5, v5, s14, v1
.LBB19_16:
	v_cndmask_b32_e64 v6, 0, 1, s[8:9]
	v_cmp_ne_u32_e64 s[6:7], 1, v6
	s_andn2_b64 vcc, exec, s[8:9]
	s_cbranch_vccnz .LBB19_18
; %bb.17:
	v_add_u32_e32 v6, 1, v4
	s_cbranch_execz .LBB19_19
	s_branch .LBB19_20
.LBB19_18:
                                        ; implicit-def: $vgpr6
.LBB19_19:
	v_add3_u32 v6, v15, s15, v1
.LBB19_20:
	v_cndmask_b32_e64 v17, 0, 1, s[10:11]
	v_mov_b32_e32 v16, 0
	v_cmp_ne_u32_e64 s[8:9], 1, v17
	s_andn2_b64 vcc, exec, s[10:11]
	v_mov_b32_e32 v17, 0
	s_cbranch_vccnz .LBB19_22
; %bb.21:
	v_add_u32_e32 v17, s21, v5
	v_mov_b32_e32 v18, 0
	v_lshlrev_b64 v[17:18], 1, v[17:18]
	v_mov_b32_e32 v5, s19
	v_add_co_u32_e32 v17, vcc, s18, v17
	v_addc_co_u32_e32 v18, vcc, v5, v18, vcc
	global_load_ushort v17, v[17:18], off
.LBB19_22:
	v_cndmask_b32_e64 v5, 0, 1, s[22:23]
	v_cmp_ne_u32_e64 s[10:11], 1, v5
	s_andn2_b64 vcc, exec, s[22:23]
	s_cbranch_vccnz .LBB19_24
; %bb.23:
	v_add_u32_e32 v5, s21, v6
	v_mov_b32_e32 v6, 0
	v_lshlrev_b64 v[5:6], 1, v[5:6]
	v_mov_b32_e32 v16, s25
	v_add_co_u32_e32 v5, vcc, s24, v5
	v_addc_co_u32_e32 v6, vcc, v16, v6, vcc
	global_load_ushort v16, v[5:6], off
.LBB19_24:
	s_and_b64 vcc, exec, s[4:5]
	s_cbranch_vccnz .LBB19_26
; %bb.25:
	v_add_u32_e32 v5, 2, v3
	s_cbranch_execz .LBB19_27
	s_branch .LBB19_28
.LBB19_26:
                                        ; implicit-def: $vgpr5
.LBB19_27:
	v_add_u32_e32 v5, 2, v2
	v_mad_u64_u32 v[5:6], s[22:23], v5, s14, v[1:2]
.LBB19_28:
	s_and_b64 vcc, exec, s[6:7]
	s_cbranch_vccnz .LBB19_30
; %bb.29:
	v_add_u32_e32 v6, 2, v4
	s_cbranch_execz .LBB19_31
	s_branch .LBB19_32
.LBB19_30:
                                        ; implicit-def: $vgpr6
.LBB19_31:
	s_lshl_b32 s22, s15, 1
	v_add3_u32 v6, v15, s22, v1
.LBB19_32:
	v_mov_b32_e32 v18, 0
	s_and_b64 vcc, exec, s[8:9]
	v_mov_b32_e32 v19, 0
	s_cbranch_vccnz .LBB19_34
; %bb.33:
	v_add_u32_e32 v19, s21, v5
	v_mov_b32_e32 v20, 0
	v_lshlrev_b64 v[19:20], 1, v[19:20]
	v_mov_b32_e32 v5, s19
	v_add_co_u32_e32 v19, vcc, s18, v19
	v_addc_co_u32_e32 v20, vcc, v5, v20, vcc
	global_load_ushort v19, v[19:20], off
.LBB19_34:
	s_and_b64 vcc, exec, s[10:11]
	s_cbranch_vccnz .LBB19_36
; %bb.35:
	v_add_u32_e32 v5, s21, v6
	v_mov_b32_e32 v6, 0
	v_lshlrev_b64 v[5:6], 1, v[5:6]
	v_mov_b32_e32 v18, s25
	v_add_co_u32_e32 v5, vcc, s24, v5
	v_addc_co_u32_e32 v6, vcc, v18, v6, vcc
	global_load_ushort v18, v[5:6], off
.LBB19_36:
	s_and_b64 vcc, exec, s[4:5]
	s_cbranch_vccnz .LBB19_38
; %bb.37:
	v_add_u32_e32 v5, 3, v3
	s_cbranch_execz .LBB19_39
	s_branch .LBB19_40
.LBB19_38:
                                        ; implicit-def: $vgpr5
.LBB19_39:
	v_add_u32_e32 v2, 3, v2
	v_mad_u64_u32 v[5:6], s[4:5], v2, s14, v[1:2]
.LBB19_40:
	s_and_b64 vcc, exec, s[6:7]
	s_cbranch_vccnz .LBB19_42
; %bb.41:
	v_add_u32_e32 v2, 3, v4
	s_cbranch_execz .LBB19_43
	s_branch .LBB19_44
.LBB19_42:
                                        ; implicit-def: $vgpr2
.LBB19_43:
	s_mul_i32 s4, s15, 3
	v_add3_u32 v2, v15, s4, v1
.LBB19_44:
	v_mov_b32_e32 v3, 0
	s_and_b64 vcc, exec, s[8:9]
	v_mov_b32_e32 v4, 0
	s_cbranch_vccnz .LBB19_46
; %bb.45:
	v_add_u32_e32 v4, s21, v5
	v_mov_b32_e32 v5, 0
	v_lshlrev_b64 v[4:5], 1, v[4:5]
	v_mov_b32_e32 v6, s19
	v_add_co_u32_e32 v4, vcc, s18, v4
	v_addc_co_u32_e32 v5, vcc, v6, v5, vcc
	global_load_ushort v4, v[4:5], off
.LBB19_46:
	s_and_b64 vcc, exec, s[10:11]
	s_cbranch_vccnz .LBB19_48
; %bb.47:
	v_add_u32_e32 v2, s21, v2
	v_mov_b32_e32 v3, 0
	v_lshlrev_b64 v[2:3], 1, v[2:3]
	v_mov_b32_e32 v5, s25
	v_add_co_u32_e32 v2, vcc, s24, v2
	v_addc_co_u32_e32 v3, vcc, v5, v3, vcc
	global_load_ushort v3, v[2:3], off
.LBB19_48:
	s_mov_b32 s4, 0x5040100
	s_waitcnt vmcnt(0)
	v_perm_b32 v5, v16, v13, s4
	v_perm_b32 v3, v3, v18, s4
	;; [unrolled: 1-line block ×3, first 2 shown]
	v_pk_mul_f16 v5, v12, v5 op_sel_hi:[0,1]
	v_perm_b32 v4, v4, v19, s4
	v_pk_mul_f16 v3, v12, v3 op_sel_hi:[0,1]
	v_pk_fma_f16 v2, v10, v2, v5 op_sel_hi:[0,1,1]
	v_pk_fma_f16 v3, v10, v4, v3 op_sel_hi:[0,1,1]
	v_cmp_ge_u32_e32 vcc, s13, v11
	s_and_saveexec_b64 s[4:5], vcc
	s_xor_b64 s[4:5], exec, s[4:5]
	s_cbranch_execz .LBB19_50
; %bb.49:
	v_mul_lo_u32 v4, v1, s20
	v_mov_b32_e32 v1, 0
	v_mov_b32_e32 v6, s17
                                        ; implicit-def: $vgpr11
                                        ; implicit-def: $vgpr8
                                        ; implicit-def: $vgpr9
	v_add3_u32 v4, v7, s21, v4
	v_sub_u32_e32 v0, v4, v0
	v_lshlrev_b64 v[4:5], 1, v[0:1]
                                        ; implicit-def: $vgpr7
	v_add_co_u32_e32 v4, vcc, s16, v4
	v_addc_co_u32_e32 v5, vcc, v6, v5, vcc
	global_store_short v[4:5], v2, off
	v_add_u32_e32 v4, 1, v0
	v_mov_b32_e32 v5, v1
	v_lshlrev_b64 v[4:5], 1, v[4:5]
	v_add_co_u32_e32 v4, vcc, s16, v4
	v_addc_co_u32_e32 v5, vcc, v6, v5, vcc
	global_store_short_d16_hi v[4:5], v2, off
	v_add_u32_e32 v4, 2, v0
	v_mov_b32_e32 v5, v1
	v_lshlrev_b64 v[4:5], 1, v[4:5]
	v_add_u32_e32 v0, 3, v0
	v_mov_b32_e32 v2, s17
	v_add_co_u32_e32 v4, vcc, s16, v4
	v_lshlrev_b64 v[0:1], 1, v[0:1]
	v_addc_co_u32_e32 v5, vcc, v2, v5, vcc
	v_add_co_u32_e32 v0, vcc, s16, v0
	v_addc_co_u32_e32 v1, vcc, v2, v1, vcc
	global_store_short v[4:5], v3, off
	global_store_short_d16_hi v[0:1], v3, off
                                        ; implicit-def: $vgpr0
                                        ; implicit-def: $vgpr2
.LBB19_50:
	s_andn2_saveexec_b64 s[4:5], s[4:5]
	s_cbranch_execz .LBB19_54
; %bb.51:
	v_cmp_gt_u32_e32 vcc, 4, v0
	s_and_b64 exec, exec, vcc
	s_cbranch_execz .LBB19_54
; %bb.52:
	v_lshl_or_b32 v4, s28, 4, v8
	s_lshl_b32 s4, s30, 4
	v_subrev_u32_e32 v4, s4, v4
	v_mul_lo_u32 v4, s20, v4
	v_min_u32_e32 v1, s13, v11
	v_sub_u32_e32 v1, v7, v1
	v_add_u32_e32 v6, 3, v1
	s_add_i32 s12, s12, s21
	v_mov_b32_e32 v1, 0
	v_add3_u32 v8, s12, v4, v9
	v_mov_b32_e32 v5, v1
	s_mov_b64 s[6:7], 0
	v_mov_b32_e32 v7, s17
	v_mov_b32_e32 v4, v0
	;; [unrolled: 1-line block ×3, first 2 shown]
.LBB19_53:                              ; =>This Inner Loop Header: Depth=1
	v_lshlrev_b32_e32 v10, 4, v4
	v_lshlrev_b64 v[8:9], 1, v[0:1]
	v_add_co_u32_e32 v4, vcc, 1, v4
	v_add_u32_e32 v6, 1, v6
	v_addc_co_u32_e32 v5, vcc, 0, v5, vcc
	v_lshrrev_b64 v[10:11], v10, v[2:3]
	v_cmp_lt_u32_e32 vcc, 2, v6
	v_add_co_u32_e64 v8, s[4:5], s16, v8
	v_add_u32_e32 v0, 1, v0
	v_addc_co_u32_e64 v9, s[4:5], v7, v9, s[4:5]
	s_or_b64 s[6:7], vcc, s[6:7]
	global_store_short v[8:9], v10, off
	s_andn2_b64 exec, exec, s[6:7]
	s_cbranch_execnz .LBB19_53
.LBB19_54:
	s_endpgm
	.section	.rodata,"a",@progbits
	.p2align	6, 0x0
	.amdhsa_kernel Transform_H_H_111_16_16_VW_4
		.amdhsa_group_segment_fixed_size 0
		.amdhsa_private_segment_fixed_size 64
		.amdhsa_kernarg_size 344
		.amdhsa_user_sgpr_count 8
		.amdhsa_user_sgpr_private_segment_buffer 1
		.amdhsa_user_sgpr_dispatch_ptr 0
		.amdhsa_user_sgpr_queue_ptr 0
		.amdhsa_user_sgpr_kernarg_segment_ptr 1
		.amdhsa_user_sgpr_dispatch_id 0
		.amdhsa_user_sgpr_flat_scratch_init 1
		.amdhsa_user_sgpr_private_segment_size 0
		.amdhsa_uses_dynamic_stack 0
		.amdhsa_system_sgpr_private_segment_wavefront_offset 1
		.amdhsa_system_sgpr_workgroup_id_x 1
		.amdhsa_system_sgpr_workgroup_id_y 0
		.amdhsa_system_sgpr_workgroup_id_z 1
		.amdhsa_system_sgpr_workgroup_info 0
		.amdhsa_system_vgpr_workitem_id 0
		.amdhsa_next_free_vgpr 42
		.amdhsa_next_free_sgpr 34
		.amdhsa_reserve_vcc 1
		.amdhsa_reserve_flat_scratch 1
		.amdhsa_float_round_mode_32 0
		.amdhsa_float_round_mode_16_64 0
		.amdhsa_float_denorm_mode_32 3
		.amdhsa_float_denorm_mode_16_64 3
		.amdhsa_dx10_clamp 1
		.amdhsa_ieee_mode 1
		.amdhsa_fp16_overflow 0
		.amdhsa_exception_fp_ieee_invalid_op 0
		.amdhsa_exception_fp_denorm_src 0
		.amdhsa_exception_fp_ieee_div_zero 0
		.amdhsa_exception_fp_ieee_overflow 0
		.amdhsa_exception_fp_ieee_underflow 0
		.amdhsa_exception_fp_ieee_inexact 0
		.amdhsa_exception_int_div_zero 0
	.end_amdhsa_kernel
	.text
.Lfunc_end19:
	.size	Transform_H_H_111_16_16_VW_4, .Lfunc_end19-Transform_H_H_111_16_16_VW_4
                                        ; -- End function
	.set Transform_H_H_111_16_16_VW_4.num_vgpr, max(42, .L__assert_fail.num_vgpr)
	.set Transform_H_H_111_16_16_VW_4.num_agpr, max(0, .L__assert_fail.num_agpr)
	.set Transform_H_H_111_16_16_VW_4.numbered_sgpr, max(33, .L__assert_fail.numbered_sgpr)
	.set Transform_H_H_111_16_16_VW_4.num_named_barrier, max(0, .L__assert_fail.num_named_barrier)
	.set Transform_H_H_111_16_16_VW_4.private_seg_size, 0+max(.L__assert_fail.private_seg_size)
	.set Transform_H_H_111_16_16_VW_4.uses_vcc, or(1, .L__assert_fail.uses_vcc)
	.set Transform_H_H_111_16_16_VW_4.uses_flat_scratch, or(1, .L__assert_fail.uses_flat_scratch)
	.set Transform_H_H_111_16_16_VW_4.has_dyn_sized_stack, or(0, .L__assert_fail.has_dyn_sized_stack)
	.set Transform_H_H_111_16_16_VW_4.has_recursion, or(0, .L__assert_fail.has_recursion)
	.set Transform_H_H_111_16_16_VW_4.has_indirect_call, or(0, .L__assert_fail.has_indirect_call)
	.section	.AMDGPU.csdata,"",@progbits
; Kernel info:
; codeLenInByte = 1616
; TotalNumSgprs: 40
; NumVgprs: 42
; ScratchSize: 64
; MemoryBound: 0
; FloatMode: 240
; IeeeMode: 1
; LDSByteSize: 0 bytes/workgroup (compile time only)
; SGPRBlocks: 4
; VGPRBlocks: 10
; NumSGPRsForWavesPerEU: 40
; NumVGPRsForWavesPerEU: 42
; Occupancy: 5
; WaveLimiterHint : 1
; COMPUTE_PGM_RSRC2:SCRATCH_EN: 1
; COMPUTE_PGM_RSRC2:USER_SGPR: 8
; COMPUTE_PGM_RSRC2:TRAP_HANDLER: 0
; COMPUTE_PGM_RSRC2:TGID_X_EN: 1
; COMPUTE_PGM_RSRC2:TGID_Y_EN: 0
; COMPUTE_PGM_RSRC2:TGID_Z_EN: 1
; COMPUTE_PGM_RSRC2:TIDIG_COMP_CNT: 0
	.text
	.protected	Transform_H_H_110_16_16_VW_1 ; -- Begin function Transform_H_H_110_16_16_VW_1
	.globl	Transform_H_H_110_16_16_VW_1
	.p2align	8
	.type	Transform_H_H_110_16_16_VW_1,@function
Transform_H_H_110_16_16_VW_1:           ; @Transform_H_H_110_16_16_VW_1
; %bb.0:
	s_mov_b64 s[26:27], s[4:5]
	s_load_dword s4, s[4:5], 0x64
	s_add_u32 flat_scratch_lo, s6, s10
	s_addc_u32 flat_scratch_hi, s7, 0
	s_add_u32 s0, s0, s10
	s_addc_u32 s1, s1, 0
	s_waitcnt lgkmcnt(0)
	s_and_b32 s4, s4, 0xffff
	s_mov_b32 s28, s9
	s_mov_b32 s29, s8
	v_mov_b32_e32 v41, v0
	s_cmpk_eq_i32 s4, 0x100
	s_mov_b64 s[4:5], -1
	s_mov_b32 s32, 0
	s_cbranch_scc1 .LBB20_2
; %bb.1:
	s_add_u32 s8, s26, 0x58
	s_addc_u32 s9, s27, 0
	s_getpc_b64 s[4:5]
	s_add_u32 s4, s4, __PRETTY_FUNCTION__._ZN10amd_detail9transformIDF16_DF16_Lb1ELb1ELb0ELj16ELj16ELj1EEEvPT_PKS1_S4_T0_PKS5_S5_S7_jjjjjjbb@rel32@lo+4
	s_addc_u32 s5, s5, __PRETTY_FUNCTION__._ZN10amd_detail9transformIDF16_DF16_Lb1ELb1ELb0ELj16ELj16ELj1EEEvPT_PKS1_S4_T0_PKS5_S5_S7_jjjjjjbb@rel32@hi+12
	s_getpc_b64 s[6:7]
	s_add_u32 s6, s6, __assert_fail@rel32@lo+4
	s_addc_u32 s7, s7, __assert_fail@rel32@hi+12
	v_mov_b32_e32 v0, s4
	v_mov_b32_e32 v1, s5
	s_swappc_b64 s[30:31], s[6:7]
	s_mov_b64 s[4:5], 0
	; divergent unreachable
.LBB20_2:
	s_andn2_b64 vcc, exec, s[4:5]
	s_cbranch_vccnz .LBB20_13
; %bb.3:
	s_load_dwordx8 s[4:11], s[26:27], 0x38
	s_waitcnt lgkmcnt(0)
	s_lshr_b32 s11, s4, 4
	s_and_b32 s12, s4, 15
	s_cmp_lg_u32 s12, 0
	s_cselect_b64 s[12:13], -1, 0
	s_cmp_lg_u64 s[12:13], 0
	s_addc_u32 s11, s11, 0
	v_cvt_f32_u32_e32 v0, s11
	s_load_dword s15, s[26:27], 0x18
	s_load_dwordx2 s[12:13], s[26:27], 0x20
	s_sub_i32 s14, 0, s11
	v_rcp_iflag_f32_e32 v0, v0
	v_mul_f32_e32 v0, 0x4f7ffffe, v0
	v_cvt_u32_f32_e32 v0, v0
	v_readfirstlane_b32 s16, v0
	s_mul_i32 s14, s14, s16
	s_mul_hi_u32 s14, s16, s14
	s_add_i32 s16, s16, s14
	s_mul_hi_u32 s14, s29, s16
	s_waitcnt lgkmcnt(0)
	s_cmp_eq_u64 s[12:13], 0
	v_mov_b32_e32 v0, s15
	s_cbranch_scc1 .LBB20_5
; %bb.4:
	v_mov_b32_e32 v0, 0
	global_load_ushort v0, v0, s[12:13]
.LBB20_5:
	s_load_dwordx2 s[12:13], s[26:27], 0x30
	s_load_dword s15, s[26:27], 0x28
	s_waitcnt lgkmcnt(0)
	s_cmp_eq_u64 s[12:13], 0
	v_mov_b32_e32 v1, s15
	s_cbranch_scc1 .LBB20_7
; %bb.6:
	v_mov_b32_e32 v1, 0
	global_load_ushort v1, v1, s[12:13]
.LBB20_7:
	s_mul_i32 s12, s14, s11
	s_sub_i32 s12, s29, s12
	s_add_i32 s13, s14, 1
	s_sub_i32 s15, s12, s11
	s_cmp_ge_u32 s12, s11
	s_cselect_b32 s13, s13, s14
	s_cselect_b32 s12, s15, s12
	s_add_i32 s14, s13, 1
	s_cmp_ge_u32 s12, s11
	s_cselect_b32 s12, s14, s13
	s_mul_i32 s11, s12, s11
	s_sub_i32 s11, s29, s11
	v_and_b32_e32 v2, 15, v41
	v_lshrrev_b32_e32 v3, 4, v41
	v_lshl_or_b32 v2, s11, 4, v2
	v_lshl_add_u32 v3, s12, 4, v3
	v_cmp_gt_u32_e32 vcc, s4, v2
	v_cmp_gt_u32_e64 s[4:5], s5, v3
	s_and_b64 s[4:5], vcc, s[4:5]
	s_and_saveexec_b64 s[12:13], s[4:5]
	s_cbranch_execz .LBB20_13
; %bb.8:
	s_load_dwordx4 s[12:15], s[26:27], 0x0
	s_load_dwordx2 s[4:5], s[26:27], 0x10
	s_mul_i32 s9, s9, s28
	v_mov_b32_e32 v5, 0
	v_mov_b32_e32 v4, 0
	s_waitcnt lgkmcnt(0)
	s_cmp_eq_u64 s[14:15], 0
	s_cbranch_scc1 .LBB20_10
; %bb.9:
	s_bitcmp1_b32 s10, 0
	s_cselect_b64 vcc, -1, 0
	v_cndmask_b32_e32 v4, v2, v3, vcc
	v_mul_lo_u32 v4, v4, s6
	v_cndmask_b32_e32 v6, v3, v2, vcc
	v_mov_b32_e32 v7, 0
	v_add3_u32 v6, v6, s9, v4
	v_lshlrev_b64 v[6:7], 1, v[6:7]
	v_mov_b32_e32 v4, s15
	v_add_co_u32_e32 v6, vcc, s14, v6
	v_addc_co_u32_e32 v7, vcc, v4, v7, vcc
	global_load_ushort v4, v[6:7], off
.LBB20_10:
	s_cmp_eq_u64 s[4:5], 0
	s_cbranch_scc1 .LBB20_12
; %bb.11:
	s_load_dword s6, s[26:27], 0x50
	v_mov_b32_e32 v6, 0
	v_mov_b32_e32 v7, s5
	s_waitcnt lgkmcnt(0)
	s_bitcmp1_b32 s6, 8
	s_cselect_b64 vcc, -1, 0
	v_cndmask_b32_e32 v5, v2, v3, vcc
	v_mul_lo_u32 v5, v5, s7
	v_cndmask_b32_e32 v8, v3, v2, vcc
	v_add3_u32 v5, v8, s9, v5
	v_lshlrev_b64 v[5:6], 1, v[5:6]
	v_add_co_u32_e32 v5, vcc, s4, v5
	v_addc_co_u32_e32 v6, vcc, v7, v6, vcc
	global_load_ushort v5, v[5:6], off
.LBB20_12:
	v_mul_lo_u32 v3, v3, s8
	s_waitcnt vmcnt(0)
	v_mul_f16_e32 v5, v1, v5
	v_mov_b32_e32 v1, 0
	v_fma_f16 v4, v0, v4, v5
	v_add3_u32 v0, v2, s9, v3
	v_lshlrev_b64 v[0:1], 1, v[0:1]
	v_mov_b32_e32 v2, s13
	v_add_co_u32_e32 v0, vcc, s12, v0
	v_addc_co_u32_e32 v1, vcc, v2, v1, vcc
	global_store_short v[0:1], v4, off
.LBB20_13:
	s_endpgm
	.section	.rodata,"a",@progbits
	.p2align	6, 0x0
	.amdhsa_kernel Transform_H_H_110_16_16_VW_1
		.amdhsa_group_segment_fixed_size 0
		.amdhsa_private_segment_fixed_size 64
		.amdhsa_kernarg_size 344
		.amdhsa_user_sgpr_count 8
		.amdhsa_user_sgpr_private_segment_buffer 1
		.amdhsa_user_sgpr_dispatch_ptr 0
		.amdhsa_user_sgpr_queue_ptr 0
		.amdhsa_user_sgpr_kernarg_segment_ptr 1
		.amdhsa_user_sgpr_dispatch_id 0
		.amdhsa_user_sgpr_flat_scratch_init 1
		.amdhsa_user_sgpr_private_segment_size 0
		.amdhsa_uses_dynamic_stack 0
		.amdhsa_system_sgpr_private_segment_wavefront_offset 1
		.amdhsa_system_sgpr_workgroup_id_x 1
		.amdhsa_system_sgpr_workgroup_id_y 0
		.amdhsa_system_sgpr_workgroup_id_z 1
		.amdhsa_system_sgpr_workgroup_info 0
		.amdhsa_system_vgpr_workitem_id 0
		.amdhsa_next_free_vgpr 42
		.amdhsa_next_free_sgpr 34
		.amdhsa_reserve_vcc 1
		.amdhsa_reserve_flat_scratch 1
		.amdhsa_float_round_mode_32 0
		.amdhsa_float_round_mode_16_64 0
		.amdhsa_float_denorm_mode_32 3
		.amdhsa_float_denorm_mode_16_64 3
		.amdhsa_dx10_clamp 1
		.amdhsa_ieee_mode 1
		.amdhsa_fp16_overflow 0
		.amdhsa_exception_fp_ieee_invalid_op 0
		.amdhsa_exception_fp_denorm_src 0
		.amdhsa_exception_fp_ieee_div_zero 0
		.amdhsa_exception_fp_ieee_overflow 0
		.amdhsa_exception_fp_ieee_underflow 0
		.amdhsa_exception_fp_ieee_inexact 0
		.amdhsa_exception_int_div_zero 0
	.end_amdhsa_kernel
	.text
.Lfunc_end20:
	.size	Transform_H_H_110_16_16_VW_1, .Lfunc_end20-Transform_H_H_110_16_16_VW_1
                                        ; -- End function
	.set Transform_H_H_110_16_16_VW_1.num_vgpr, max(42, .L__assert_fail.num_vgpr)
	.set Transform_H_H_110_16_16_VW_1.num_agpr, max(0, .L__assert_fail.num_agpr)
	.set Transform_H_H_110_16_16_VW_1.numbered_sgpr, max(33, .L__assert_fail.numbered_sgpr)
	.set Transform_H_H_110_16_16_VW_1.num_named_barrier, max(0, .L__assert_fail.num_named_barrier)
	.set Transform_H_H_110_16_16_VW_1.private_seg_size, 0+max(.L__assert_fail.private_seg_size)
	.set Transform_H_H_110_16_16_VW_1.uses_vcc, or(1, .L__assert_fail.uses_vcc)
	.set Transform_H_H_110_16_16_VW_1.uses_flat_scratch, or(1, .L__assert_fail.uses_flat_scratch)
	.set Transform_H_H_110_16_16_VW_1.has_dyn_sized_stack, or(0, .L__assert_fail.has_dyn_sized_stack)
	.set Transform_H_H_110_16_16_VW_1.has_recursion, or(0, .L__assert_fail.has_recursion)
	.set Transform_H_H_110_16_16_VW_1.has_indirect_call, or(0, .L__assert_fail.has_indirect_call)
	.section	.AMDGPU.csdata,"",@progbits
; Kernel info:
; codeLenInByte = 664
; TotalNumSgprs: 40
; NumVgprs: 42
; ScratchSize: 64
; MemoryBound: 0
; FloatMode: 240
; IeeeMode: 1
; LDSByteSize: 0 bytes/workgroup (compile time only)
; SGPRBlocks: 4
; VGPRBlocks: 10
; NumSGPRsForWavesPerEU: 40
; NumVGPRsForWavesPerEU: 42
; Occupancy: 5
; WaveLimiterHint : 1
; COMPUTE_PGM_RSRC2:SCRATCH_EN: 1
; COMPUTE_PGM_RSRC2:USER_SGPR: 8
; COMPUTE_PGM_RSRC2:TRAP_HANDLER: 0
; COMPUTE_PGM_RSRC2:TGID_X_EN: 1
; COMPUTE_PGM_RSRC2:TGID_Y_EN: 0
; COMPUTE_PGM_RSRC2:TGID_Z_EN: 1
; COMPUTE_PGM_RSRC2:TIDIG_COMP_CNT: 0
	.text
	.protected	Transform_H_H_110_16_16_VW_4 ; -- Begin function Transform_H_H_110_16_16_VW_4
	.globl	Transform_H_H_110_16_16_VW_4
	.p2align	8
	.type	Transform_H_H_110_16_16_VW_4,@function
Transform_H_H_110_16_16_VW_4:           ; @Transform_H_H_110_16_16_VW_4
; %bb.0:
	s_mov_b64 s[26:27], s[4:5]
	s_load_dword s4, s[4:5], 0x64
	s_add_u32 flat_scratch_lo, s6, s10
	s_addc_u32 flat_scratch_hi, s7, 0
	s_add_u32 s0, s0, s10
	s_addc_u32 s1, s1, 0
	s_waitcnt lgkmcnt(0)
	s_and_b32 s4, s4, 0xffff
	s_mov_b32 s29, s9
	s_mov_b32 s28, s8
	v_mov_b32_e32 v41, v0
	s_cmpk_eq_i32 s4, 0x100
	s_mov_b64 s[4:5], -1
	s_mov_b32 s32, 0
	s_cbranch_scc1 .LBB21_2
; %bb.1:
	s_add_u32 s8, s26, 0x58
	s_addc_u32 s9, s27, 0
	s_getpc_b64 s[4:5]
	s_add_u32 s4, s4, __PRETTY_FUNCTION__._ZN10amd_detail9transformIDF16_DF16_Lb1ELb1ELb0ELj16ELj16ELj4EEEvPT_PKS1_S4_T0_PKS5_S5_S7_jjjjjjbb@rel32@lo+4
	s_addc_u32 s5, s5, __PRETTY_FUNCTION__._ZN10amd_detail9transformIDF16_DF16_Lb1ELb1ELb0ELj16ELj16ELj4EEEvPT_PKS1_S4_T0_PKS5_S5_S7_jjjjjjbb@rel32@hi+12
	s_getpc_b64 s[6:7]
	s_add_u32 s6, s6, __assert_fail@rel32@lo+4
	s_addc_u32 s7, s7, __assert_fail@rel32@hi+12
	v_mov_b32_e32 v0, s4
	v_mov_b32_e32 v1, s5
	s_swappc_b64 s[30:31], s[6:7]
	s_mov_b64 s[4:5], 0
	; divergent unreachable
.LBB21_2:
	s_andn2_b64 vcc, exec, s[4:5]
	s_cbranch_vccnz .LBB21_54
; %bb.3:
	s_load_dwordx8 s[12:19], s[26:27], 0x38
	s_waitcnt lgkmcnt(0)
	s_lshr_b32 s6, s12, 6
	s_and_b32 s4, s12, 63
	s_cmp_lg_u32 s4, 0
	s_cselect_b64 s[4:5], -1, 0
	s_cmp_lg_u64 s[4:5], 0
	s_addc_u32 s6, s6, 0
	v_cvt_f32_u32_e32 v0, s6
	s_load_dword s8, s[26:27], 0x18
	s_load_dwordx2 s[4:5], s[26:27], 0x20
	s_sub_i32 s7, 0, s6
	v_rcp_iflag_f32_e32 v0, v0
	s_waitcnt lgkmcnt(0)
	v_mov_b32_e32 v8, s8
	v_mul_f32_e32 v0, 0x4f7ffffe, v0
	v_cvt_u32_f32_e32 v0, v0
	v_readfirstlane_b32 s9, v0
	s_mul_i32 s7, s7, s9
	s_mul_hi_u32 s7, s9, s7
	s_add_i32 s9, s9, s7
	s_mul_hi_u32 s7, s28, s9
	s_cmp_eq_u64 s[4:5], 0
	s_cbranch_scc1 .LBB21_5
; %bb.4:
	v_mov_b32_e32 v0, 0
	global_load_ushort v8, v0, s[4:5]
.LBB21_5:
	s_load_dwordx2 s[4:5], s[26:27], 0x30
	s_load_dword s8, s[26:27], 0x28
	s_waitcnt lgkmcnt(0)
	s_cmp_eq_u64 s[4:5], 0
	v_mov_b32_e32 v10, s8
	s_cbranch_scc1 .LBB21_7
; %bb.6:
	v_mov_b32_e32 v0, 0
	global_load_ushort v10, v0, s[4:5]
.LBB21_7:
	s_mul_i32 s4, s7, s6
	s_sub_i32 s4, s28, s4
	s_add_i32 s5, s7, 1
	s_sub_i32 s8, s4, s6
	s_cmp_ge_u32 s4, s6
	s_cselect_b32 s5, s5, s7
	s_cselect_b32 s4, s8, s4
	s_add_i32 s7, s5, 1
	s_cmp_ge_u32 s4, s6
	s_cselect_b32 s30, s7, s5
	v_lshrrev_b32_e32 v0, 4, v41
	v_lshl_add_u32 v0, s30, 4, v0
	v_cmp_gt_u32_e32 vcc, s13, v0
	s_and_saveexec_b64 s[4:5], vcc
	s_cbranch_execz .LBB21_54
; %bb.8:
	s_mul_i32 s30, s30, s6
	v_lshlrev_b32_e32 v1, 2, v41
	s_sub_i32 s4, s28, s30
	v_and_b32_e32 v9, 60, v1
	v_lshl_or_b32 v12, s4, 6, v9
	v_add_u32_e32 v13, 4, v12
	s_load_dwordx4 s[20:23], s[26:27], 0x0
	s_load_dwordx2 s[24:25], s[26:27], 0x10
	v_sub_u32_e64 v11, v13, s12 clamp
	v_sub_u32_e32 v4, v12, v11
	v_mad_u64_u32 v[1:2], s[4:5], v0, s14, v[4:5]
	s_bitcmp1_b32 s18, 0
	s_cselect_b64 vcc, -1, 0
	s_waitcnt lgkmcnt(0)
	s_cmp_lg_u64 s[22:23], 0
	s_mul_i32 s13, s17, s29
	s_cselect_b64 s[10:11], -1, 0
	s_cmp_eq_u64 s[22:23], 0
	v_mov_b32_e32 v14, 0
	v_mov_b32_e32 v15, 0
	s_cbranch_scc1 .LBB21_10
; %bb.9:
	v_mad_u64_u32 v[2:3], s[4:5], v4, s14, v[0:1]
	v_mov_b32_e32 v3, 0
	v_mov_b32_e32 v5, s23
	v_cndmask_b32_e32 v2, v2, v1, vcc
	v_add_u32_e32 v2, s13, v2
	v_lshlrev_b64 v[2:3], 1, v[2:3]
	v_add_co_u32_e64 v2, s[4:5], s22, v2
	v_addc_co_u32_e64 v3, s[4:5], v5, v3, s[4:5]
	global_load_ushort v15, v[2:3], off
.LBB21_10:
	s_load_dword s6, s[26:27], 0x50
	s_xor_b64 s[8:9], vcc, -1
	v_mad_u64_u32 v[2:3], s[4:5], v0, s15, v[4:5]
	s_waitcnt lgkmcnt(0)
	s_bitcmp1_b32 s6, 8
	s_cselect_b64 s[6:7], -1, 0
	s_cmp_lg_u64 s[24:25], 0
	s_cselect_b64 s[18:19], -1, 0
	s_cmp_eq_u64 s[24:25], 0
	s_cbranch_scc1 .LBB21_12
; %bb.11:
	v_mad_u64_u32 v[5:6], s[4:5], v4, s15, v[0:1]
	v_mov_b32_e32 v6, 0
	v_mov_b32_e32 v3, s25
	v_cndmask_b32_e64 v5, v5, v2, s[6:7]
	v_add_u32_e32 v5, s13, v5
	v_lshlrev_b64 v[5:6], 1, v[5:6]
	v_add_co_u32_e32 v5, vcc, s24, v5
	v_addc_co_u32_e32 v6, vcc, v3, v6, vcc
	global_load_ushort v14, v[5:6], off
.LBB21_12:
	v_cndmask_b32_e64 v3, 0, 1, s[8:9]
	v_cmp_ne_u32_e64 s[4:5], 1, v3
	s_andn2_b64 vcc, exec, s[8:9]
	s_cbranch_vccnz .LBB21_14
; %bb.13:
	v_mul_lo_u32 v3, s14, v4
	v_add3_u32 v3, v3, s14, v0
	s_xor_b64 s[8:9], s[6:7], -1
	s_cbranch_execz .LBB21_15
	s_branch .LBB21_16
.LBB21_14:
                                        ; implicit-def: $vgpr3
	s_xor_b64 s[8:9], s[6:7], -1
.LBB21_15:
	v_add_u32_e32 v3, 1, v1
.LBB21_16:
	v_cndmask_b32_e64 v5, 0, 1, s[8:9]
	v_cmp_ne_u32_e64 s[6:7], 1, v5
	s_andn2_b64 vcc, exec, s[8:9]
	s_cbranch_vccnz .LBB21_18
; %bb.17:
	v_mul_lo_u32 v5, s15, v4
	v_add3_u32 v5, v5, s15, v0
	s_cbranch_execz .LBB21_19
	s_branch .LBB21_20
.LBB21_18:
                                        ; implicit-def: $vgpr5
.LBB21_19:
	v_add_u32_e32 v5, 1, v2
.LBB21_20:
	v_cndmask_b32_e64 v6, 0, 1, s[10:11]
	v_mov_b32_e32 v16, 0
	v_cmp_ne_u32_e64 s[8:9], 1, v6
	s_andn2_b64 vcc, exec, s[10:11]
	v_mov_b32_e32 v17, 0
	s_cbranch_vccnz .LBB21_22
; %bb.21:
	v_add_u32_e32 v6, s13, v3
	v_mov_b32_e32 v7, 0
	v_lshlrev_b64 v[6:7], 1, v[6:7]
	v_mov_b32_e32 v3, s23
	v_add_co_u32_e32 v6, vcc, s22, v6
	v_addc_co_u32_e32 v7, vcc, v3, v7, vcc
	global_load_ushort v17, v[6:7], off
.LBB21_22:
	v_cndmask_b32_e64 v3, 0, 1, s[18:19]
	v_cmp_ne_u32_e64 s[10:11], 1, v3
	s_andn2_b64 vcc, exec, s[18:19]
	s_cbranch_vccnz .LBB21_24
; %bb.23:
	v_add_u32_e32 v5, s13, v5
	v_mov_b32_e32 v6, 0
	v_lshlrev_b64 v[5:6], 1, v[5:6]
	v_mov_b32_e32 v3, s25
	v_add_co_u32_e32 v5, vcc, s24, v5
	v_addc_co_u32_e32 v6, vcc, v3, v6, vcc
	global_load_ushort v16, v[5:6], off
.LBB21_24:
	s_and_b64 vcc, exec, s[4:5]
	v_add_u32_e32 v3, 2, v4
	s_cbranch_vccnz .LBB21_26
; %bb.25:
	v_mad_u64_u32 v[5:6], s[18:19], v3, s14, v[0:1]
	s_cbranch_execz .LBB21_27
	s_branch .LBB21_28
.LBB21_26:
                                        ; implicit-def: $vgpr5
.LBB21_27:
	v_add_u32_e32 v5, 2, v1
.LBB21_28:
	s_and_b64 vcc, exec, s[6:7]
	s_cbranch_vccnz .LBB21_30
; %bb.29:
	v_mad_u64_u32 v[6:7], s[18:19], v3, s15, v[0:1]
	s_cbranch_execz .LBB21_31
	s_branch .LBB21_32
.LBB21_30:
                                        ; implicit-def: $vgpr6
.LBB21_31:
	v_add_u32_e32 v6, 2, v2
.LBB21_32:
	v_mov_b32_e32 v7, 0
	s_and_b64 vcc, exec, s[8:9]
	v_mov_b32_e32 v18, 0
	s_cbranch_vccnz .LBB21_34
; %bb.33:
	v_add_u32_e32 v18, s13, v5
	v_mov_b32_e32 v19, 0
	v_lshlrev_b64 v[18:19], 1, v[18:19]
	v_mov_b32_e32 v3, s23
	v_add_co_u32_e32 v18, vcc, s22, v18
	v_addc_co_u32_e32 v19, vcc, v3, v19, vcc
	global_load_ushort v18, v[18:19], off
.LBB21_34:
	s_and_b64 vcc, exec, s[10:11]
	s_cbranch_vccnz .LBB21_36
; %bb.35:
	v_add_u32_e32 v5, s13, v6
	v_mov_b32_e32 v6, 0
	v_lshlrev_b64 v[5:6], 1, v[5:6]
	v_mov_b32_e32 v3, s25
	v_add_co_u32_e32 v5, vcc, s24, v5
	v_addc_co_u32_e32 v6, vcc, v3, v6, vcc
	global_load_ushort v7, v[5:6], off
.LBB21_36:
	s_and_b64 vcc, exec, s[4:5]
	v_add_u32_e32 v5, 3, v4
	s_cbranch_vccnz .LBB21_38
; %bb.37:
	v_mad_u64_u32 v[3:4], s[4:5], v5, s14, v[0:1]
	s_cbranch_execz .LBB21_39
	s_branch .LBB21_40
.LBB21_38:
                                        ; implicit-def: $vgpr3
.LBB21_39:
	v_add_u32_e32 v3, 3, v1
.LBB21_40:
	s_and_b64 vcc, exec, s[6:7]
	s_cbranch_vccnz .LBB21_42
; %bb.41:
	v_mad_u64_u32 v[4:5], s[4:5], v5, s15, v[0:1]
	s_cbranch_execz .LBB21_43
	s_branch .LBB21_44
.LBB21_42:
                                        ; implicit-def: $vgpr4
.LBB21_43:
	v_add_u32_e32 v4, 3, v2
.LBB21_44:
	v_mov_b32_e32 v2, 0
	s_and_b64 vcc, exec, s[8:9]
	v_mov_b32_e32 v5, 0
	s_cbranch_vccnz .LBB21_46
; %bb.45:
	v_add_u32_e32 v5, s13, v3
	v_mov_b32_e32 v6, 0
	v_lshlrev_b64 v[5:6], 1, v[5:6]
	v_mov_b32_e32 v1, s23
	v_add_co_u32_e32 v5, vcc, s22, v5
	v_addc_co_u32_e32 v6, vcc, v1, v6, vcc
	global_load_ushort v5, v[5:6], off
.LBB21_46:
	s_and_b64 vcc, exec, s[10:11]
	s_cbranch_vccnz .LBB21_48
; %bb.47:
	v_add_u32_e32 v1, s13, v4
	v_mov_b32_e32 v2, 0
	v_lshlrev_b64 v[1:2], 1, v[1:2]
	v_mov_b32_e32 v3, s25
	v_add_co_u32_e32 v1, vcc, s24, v1
	v_addc_co_u32_e32 v2, vcc, v3, v2, vcc
	global_load_ushort v2, v[1:2], off
.LBB21_48:
	s_mov_b32 s4, 0x5040100
	s_waitcnt vmcnt(0)
	v_perm_b32 v3, v16, v14, s4
	v_perm_b32 v1, v17, v15, s4
	v_pk_mul_f16 v3, v10, v3 op_sel_hi:[0,1]
	v_pk_fma_f16 v1, v8, v1, v3 op_sel_hi:[0,1,1]
	v_mul_lo_u32 v3, v0, s16
	v_perm_b32 v2, v2, v7, s4
	v_perm_b32 v4, v5, v18, s4
	v_pk_mul_f16 v0, v10, v2 op_sel_hi:[0,1]
	v_pk_fma_f16 v2, v8, v4, v0 op_sel_hi:[0,1,1]
	v_cmp_ge_u32_e32 vcc, s12, v13
	s_and_saveexec_b64 s[4:5], vcc
	s_xor_b64 s[4:5], exec, s[4:5]
	s_cbranch_execz .LBB21_50
; %bb.49:
	v_add_u32_e32 v0, s13, v12
	v_sub_u32_e32 v0, v0, v11
	v_add_u32_e32 v3, v0, v3
	v_mov_b32_e32 v4, 0
	v_lshlrev_b64 v[5:6], 1, v[3:4]
	v_mov_b32_e32 v0, s21
	v_add_co_u32_e32 v5, vcc, s20, v5
	v_addc_co_u32_e32 v6, vcc, v0, v6, vcc
	global_store_short v[5:6], v1, off
	v_add_u32_e32 v5, 1, v3
	v_mov_b32_e32 v6, v4
	v_lshlrev_b64 v[5:6], 1, v[5:6]
                                        ; implicit-def: $vgpr11
                                        ; implicit-def: $vgpr9
	v_add_co_u32_e32 v5, vcc, s20, v5
	v_addc_co_u32_e32 v6, vcc, v0, v6, vcc
	global_store_short_d16_hi v[5:6], v1, off
	v_add_u32_e32 v0, 2, v3
	v_mov_b32_e32 v1, v4
	v_lshlrev_b64 v[0:1], 1, v[0:1]
	v_mov_b32_e32 v5, s21
	v_add_co_u32_e32 v0, vcc, s20, v0
	v_addc_co_u32_e32 v1, vcc, v5, v1, vcc
	v_add_u32_e32 v3, 3, v3
	global_store_short v[0:1], v2, off
	v_lshlrev_b64 v[0:1], 1, v[3:4]
	v_mov_b32_e32 v3, s21
	v_add_co_u32_e32 v0, vcc, s20, v0
	v_addc_co_u32_e32 v1, vcc, v3, v1, vcc
	global_store_short_d16_hi v[0:1], v2, off
                                        ; implicit-def: $vgpr1
                                        ; implicit-def: $vgpr3
.LBB21_50:
	s_andn2_saveexec_b64 s[4:5], s[4:5]
	s_cbranch_execz .LBB21_54
; %bb.51:
	v_cmp_gt_u32_e32 vcc, 4, v11
	s_and_b64 exec, exec, vcc
	s_cbranch_execz .LBB21_54
; %bb.52:
	v_lshl_or_b32 v4, s28, 6, v9
	s_lshl_b32 s4, s30, 6
	v_subrev_u32_e32 v0, s4, v4
	v_add_u32_e32 v5, 4, v0
	v_min_u32_e32 v6, s12, v5
	v_add3_u32 v3, s13, v3, v4
	v_mov_b32_e32 v4, 0
	v_sub_u32_e32 v0, v0, v6
	v_subrev_u32_e32 v8, s4, v3
	v_sub_u32_e32 v3, v5, v6
	v_mov_b32_e32 v6, v4
	v_add_u32_e32 v0, 3, v0
	s_mov_b64 s[6:7], 0
	v_mov_b32_e32 v7, s21
	v_mov_b32_e32 v5, v3
	;; [unrolled: 1-line block ×3, first 2 shown]
.LBB21_53:                              ; =>This Inner Loop Header: Depth=1
	v_lshlrev_b32_e32 v10, 4, v5
	v_lshlrev_b64 v[8:9], 1, v[3:4]
	v_add_co_u32_e32 v5, vcc, 1, v5
	v_add_u32_e32 v0, 1, v0
	v_addc_co_u32_e32 v6, vcc, 0, v6, vcc
	v_lshrrev_b64 v[10:11], v10, v[1:2]
	v_cmp_lt_u32_e32 vcc, 2, v0
	v_add_co_u32_e64 v8, s[4:5], s20, v8
	v_add_u32_e32 v3, 1, v3
	v_addc_co_u32_e64 v9, s[4:5], v7, v9, s[4:5]
	s_or_b64 s[6:7], vcc, s[6:7]
	global_store_short v[8:9], v10, off
	s_andn2_b64 exec, exec, s[6:7]
	s_cbranch_execnz .LBB21_53
.LBB21_54:
	s_endpgm
	.section	.rodata,"a",@progbits
	.p2align	6, 0x0
	.amdhsa_kernel Transform_H_H_110_16_16_VW_4
		.amdhsa_group_segment_fixed_size 0
		.amdhsa_private_segment_fixed_size 64
		.amdhsa_kernarg_size 344
		.amdhsa_user_sgpr_count 8
		.amdhsa_user_sgpr_private_segment_buffer 1
		.amdhsa_user_sgpr_dispatch_ptr 0
		.amdhsa_user_sgpr_queue_ptr 0
		.amdhsa_user_sgpr_kernarg_segment_ptr 1
		.amdhsa_user_sgpr_dispatch_id 0
		.amdhsa_user_sgpr_flat_scratch_init 1
		.amdhsa_user_sgpr_private_segment_size 0
		.amdhsa_uses_dynamic_stack 0
		.amdhsa_system_sgpr_private_segment_wavefront_offset 1
		.amdhsa_system_sgpr_workgroup_id_x 1
		.amdhsa_system_sgpr_workgroup_id_y 0
		.amdhsa_system_sgpr_workgroup_id_z 1
		.amdhsa_system_sgpr_workgroup_info 0
		.amdhsa_system_vgpr_workitem_id 0
		.amdhsa_next_free_vgpr 42
		.amdhsa_next_free_sgpr 34
		.amdhsa_reserve_vcc 1
		.amdhsa_reserve_flat_scratch 1
		.amdhsa_float_round_mode_32 0
		.amdhsa_float_round_mode_16_64 0
		.amdhsa_float_denorm_mode_32 3
		.amdhsa_float_denorm_mode_16_64 3
		.amdhsa_dx10_clamp 1
		.amdhsa_ieee_mode 1
		.amdhsa_fp16_overflow 0
		.amdhsa_exception_fp_ieee_invalid_op 0
		.amdhsa_exception_fp_denorm_src 0
		.amdhsa_exception_fp_ieee_div_zero 0
		.amdhsa_exception_fp_ieee_overflow 0
		.amdhsa_exception_fp_ieee_underflow 0
		.amdhsa_exception_fp_ieee_inexact 0
		.amdhsa_exception_int_div_zero 0
	.end_amdhsa_kernel
	.text
.Lfunc_end21:
	.size	Transform_H_H_110_16_16_VW_4, .Lfunc_end21-Transform_H_H_110_16_16_VW_4
                                        ; -- End function
	.set Transform_H_H_110_16_16_VW_4.num_vgpr, max(42, .L__assert_fail.num_vgpr)
	.set Transform_H_H_110_16_16_VW_4.num_agpr, max(0, .L__assert_fail.num_agpr)
	.set Transform_H_H_110_16_16_VW_4.numbered_sgpr, max(33, .L__assert_fail.numbered_sgpr)
	.set Transform_H_H_110_16_16_VW_4.num_named_barrier, max(0, .L__assert_fail.num_named_barrier)
	.set Transform_H_H_110_16_16_VW_4.private_seg_size, 0+max(.L__assert_fail.private_seg_size)
	.set Transform_H_H_110_16_16_VW_4.uses_vcc, or(1, .L__assert_fail.uses_vcc)
	.set Transform_H_H_110_16_16_VW_4.uses_flat_scratch, or(1, .L__assert_fail.uses_flat_scratch)
	.set Transform_H_H_110_16_16_VW_4.has_dyn_sized_stack, or(0, .L__assert_fail.has_dyn_sized_stack)
	.set Transform_H_H_110_16_16_VW_4.has_recursion, or(0, .L__assert_fail.has_recursion)
	.set Transform_H_H_110_16_16_VW_4.has_indirect_call, or(0, .L__assert_fail.has_indirect_call)
	.section	.AMDGPU.csdata,"",@progbits
; Kernel info:
; codeLenInByte = 1604
; TotalNumSgprs: 40
; NumVgprs: 42
; ScratchSize: 64
; MemoryBound: 0
; FloatMode: 240
; IeeeMode: 1
; LDSByteSize: 0 bytes/workgroup (compile time only)
; SGPRBlocks: 4
; VGPRBlocks: 10
; NumSGPRsForWavesPerEU: 40
; NumVGPRsForWavesPerEU: 42
; Occupancy: 5
; WaveLimiterHint : 1
; COMPUTE_PGM_RSRC2:SCRATCH_EN: 1
; COMPUTE_PGM_RSRC2:USER_SGPR: 8
; COMPUTE_PGM_RSRC2:TRAP_HANDLER: 0
; COMPUTE_PGM_RSRC2:TGID_X_EN: 1
; COMPUTE_PGM_RSRC2:TGID_Y_EN: 0
; COMPUTE_PGM_RSRC2:TGID_Z_EN: 1
; COMPUTE_PGM_RSRC2:TIDIG_COMP_CNT: 0
	.text
	.protected	Transform_H_H_101_16_16_VW_1 ; -- Begin function Transform_H_H_101_16_16_VW_1
	.globl	Transform_H_H_101_16_16_VW_1
	.p2align	8
	.type	Transform_H_H_101_16_16_VW_1,@function
Transform_H_H_101_16_16_VW_1:           ; @Transform_H_H_101_16_16_VW_1
; %bb.0:
	s_mov_b64 s[26:27], s[4:5]
	s_load_dword s4, s[4:5], 0x64
	s_add_u32 flat_scratch_lo, s6, s10
	s_addc_u32 flat_scratch_hi, s7, 0
	s_add_u32 s0, s0, s10
	s_addc_u32 s1, s1, 0
	s_waitcnt lgkmcnt(0)
	s_and_b32 s4, s4, 0xffff
	s_mov_b32 s28, s9
	s_mov_b32 s29, s8
	v_mov_b32_e32 v41, v0
	s_cmpk_eq_i32 s4, 0x100
	s_mov_b64 s[4:5], -1
	s_mov_b32 s32, 0
	s_cbranch_scc1 .LBB22_2
; %bb.1:
	s_add_u32 s8, s26, 0x58
	s_addc_u32 s9, s27, 0
	s_getpc_b64 s[4:5]
	s_add_u32 s4, s4, __PRETTY_FUNCTION__._ZN10amd_detail9transformIDF16_DF16_Lb1ELb0ELb1ELj16ELj16ELj1EEEvPT_PKS1_S4_T0_PKS5_S5_S7_jjjjjjbb@rel32@lo+4
	s_addc_u32 s5, s5, __PRETTY_FUNCTION__._ZN10amd_detail9transformIDF16_DF16_Lb1ELb0ELb1ELj16ELj16ELj1EEEvPT_PKS1_S4_T0_PKS5_S5_S7_jjjjjjbb@rel32@hi+12
	s_getpc_b64 s[6:7]
	s_add_u32 s6, s6, __assert_fail@rel32@lo+4
	s_addc_u32 s7, s7, __assert_fail@rel32@hi+12
	v_mov_b32_e32 v0, s4
	v_mov_b32_e32 v1, s5
	s_swappc_b64 s[30:31], s[6:7]
	s_mov_b64 s[4:5], 0
	; divergent unreachable
.LBB22_2:
	s_andn2_b64 vcc, exec, s[4:5]
	s_cbranch_vccnz .LBB22_13
; %bb.3:
	s_load_dwordx8 s[4:11], s[26:27], 0x38
	s_waitcnt lgkmcnt(0)
	s_lshr_b32 s11, s4, 4
	s_and_b32 s12, s4, 15
	s_cmp_lg_u32 s12, 0
	s_cselect_b64 s[12:13], -1, 0
	s_cmp_lg_u64 s[12:13], 0
	s_addc_u32 s11, s11, 0
	v_cvt_f32_u32_e32 v0, s11
	s_load_dword s15, s[26:27], 0x18
	s_load_dwordx2 s[12:13], s[26:27], 0x20
	s_sub_i32 s14, 0, s11
	v_rcp_iflag_f32_e32 v0, v0
	v_mul_f32_e32 v0, 0x4f7ffffe, v0
	v_cvt_u32_f32_e32 v0, v0
	v_readfirstlane_b32 s16, v0
	s_mul_i32 s14, s14, s16
	s_mul_hi_u32 s14, s16, s14
	s_add_i32 s16, s16, s14
	s_mul_hi_u32 s14, s29, s16
	s_waitcnt lgkmcnt(0)
	s_cmp_eq_u64 s[12:13], 0
	v_mov_b32_e32 v0, s15
	s_cbranch_scc1 .LBB22_5
; %bb.4:
	v_mov_b32_e32 v0, 0
	global_load_ushort v0, v0, s[12:13]
.LBB22_5:
	s_load_dwordx2 s[12:13], s[26:27], 0x30
	s_load_dword s15, s[26:27], 0x28
	s_waitcnt lgkmcnt(0)
	s_cmp_eq_u64 s[12:13], 0
	v_mov_b32_e32 v1, s15
	s_cbranch_scc1 .LBB22_7
; %bb.6:
	v_mov_b32_e32 v1, 0
	global_load_ushort v1, v1, s[12:13]
.LBB22_7:
	s_mul_i32 s12, s14, s11
	s_sub_i32 s12, s29, s12
	s_add_i32 s13, s14, 1
	s_sub_i32 s15, s12, s11
	s_cmp_ge_u32 s12, s11
	s_cselect_b32 s13, s13, s14
	s_cselect_b32 s12, s15, s12
	s_add_i32 s14, s13, 1
	s_cmp_ge_u32 s12, s11
	s_cselect_b32 s12, s14, s13
	s_mul_i32 s11, s12, s11
	s_sub_i32 s11, s29, s11
	v_and_b32_e32 v2, 15, v41
	v_lshrrev_b32_e32 v4, 4, v41
	v_lshl_or_b32 v3, s11, 4, v2
	v_lshl_add_u32 v2, s12, 4, v4
	v_cmp_gt_u32_e32 vcc, s4, v3
	v_cmp_gt_u32_e64 s[4:5], s5, v2
	s_and_b64 s[4:5], vcc, s[4:5]
	s_and_saveexec_b64 s[12:13], s[4:5]
	s_cbranch_execz .LBB22_13
; %bb.8:
	s_load_dwordx4 s[12:15], s[26:27], 0x0
	s_load_dwordx2 s[4:5], s[26:27], 0x10
	s_mul_i32 s9, s9, s28
	v_mov_b32_e32 v5, 0
	v_mov_b32_e32 v4, 0
	s_waitcnt lgkmcnt(0)
	s_cmp_eq_u64 s[14:15], 0
	s_cbranch_scc1 .LBB22_10
; %bb.9:
	s_bitcmp1_b32 s10, 0
	s_cselect_b64 vcc, -1, 0
	v_cndmask_b32_e32 v4, v3, v2, vcc
	v_mul_lo_u32 v4, v4, s6
	v_cndmask_b32_e32 v6, v2, v3, vcc
	v_mov_b32_e32 v7, 0
	v_add3_u32 v6, v6, s9, v4
	v_lshlrev_b64 v[6:7], 1, v[6:7]
	v_mov_b32_e32 v4, s15
	v_add_co_u32_e32 v6, vcc, s14, v6
	v_addc_co_u32_e32 v7, vcc, v4, v7, vcc
	global_load_ushort v4, v[6:7], off
.LBB22_10:
	s_cmp_eq_u64 s[4:5], 0
	s_cbranch_scc1 .LBB22_12
; %bb.11:
	s_load_dword s6, s[26:27], 0x50
	v_mov_b32_e32 v6, 0
	v_mov_b32_e32 v7, s5
	s_waitcnt lgkmcnt(0)
	s_bitcmp1_b32 s6, 8
	s_cselect_b64 vcc, -1, 0
	v_cndmask_b32_e32 v5, v2, v3, vcc
	v_mul_lo_u32 v5, v5, s7
	v_cndmask_b32_e32 v8, v3, v2, vcc
	v_add3_u32 v5, v8, s9, v5
	v_lshlrev_b64 v[5:6], 1, v[5:6]
	v_add_co_u32_e32 v5, vcc, s4, v5
	v_addc_co_u32_e32 v6, vcc, v7, v6, vcc
	global_load_ushort v5, v[5:6], off
.LBB22_12:
	v_mul_lo_u32 v3, v3, s8
	s_waitcnt vmcnt(0)
	v_mul_f16_e32 v5, v1, v5
	v_mov_b32_e32 v1, 0
	v_fma_f16 v4, v0, v4, v5
	v_add3_u32 v0, v2, s9, v3
	v_lshlrev_b64 v[0:1], 1, v[0:1]
	v_mov_b32_e32 v2, s13
	v_add_co_u32_e32 v0, vcc, s12, v0
	v_addc_co_u32_e32 v1, vcc, v2, v1, vcc
	global_store_short v[0:1], v4, off
.LBB22_13:
	s_endpgm
	.section	.rodata,"a",@progbits
	.p2align	6, 0x0
	.amdhsa_kernel Transform_H_H_101_16_16_VW_1
		.amdhsa_group_segment_fixed_size 0
		.amdhsa_private_segment_fixed_size 64
		.amdhsa_kernarg_size 344
		.amdhsa_user_sgpr_count 8
		.amdhsa_user_sgpr_private_segment_buffer 1
		.amdhsa_user_sgpr_dispatch_ptr 0
		.amdhsa_user_sgpr_queue_ptr 0
		.amdhsa_user_sgpr_kernarg_segment_ptr 1
		.amdhsa_user_sgpr_dispatch_id 0
		.amdhsa_user_sgpr_flat_scratch_init 1
		.amdhsa_user_sgpr_private_segment_size 0
		.amdhsa_uses_dynamic_stack 0
		.amdhsa_system_sgpr_private_segment_wavefront_offset 1
		.amdhsa_system_sgpr_workgroup_id_x 1
		.amdhsa_system_sgpr_workgroup_id_y 0
		.amdhsa_system_sgpr_workgroup_id_z 1
		.amdhsa_system_sgpr_workgroup_info 0
		.amdhsa_system_vgpr_workitem_id 0
		.amdhsa_next_free_vgpr 42
		.amdhsa_next_free_sgpr 34
		.amdhsa_reserve_vcc 1
		.amdhsa_reserve_flat_scratch 1
		.amdhsa_float_round_mode_32 0
		.amdhsa_float_round_mode_16_64 0
		.amdhsa_float_denorm_mode_32 3
		.amdhsa_float_denorm_mode_16_64 3
		.amdhsa_dx10_clamp 1
		.amdhsa_ieee_mode 1
		.amdhsa_fp16_overflow 0
		.amdhsa_exception_fp_ieee_invalid_op 0
		.amdhsa_exception_fp_denorm_src 0
		.amdhsa_exception_fp_ieee_div_zero 0
		.amdhsa_exception_fp_ieee_overflow 0
		.amdhsa_exception_fp_ieee_underflow 0
		.amdhsa_exception_fp_ieee_inexact 0
		.amdhsa_exception_int_div_zero 0
	.end_amdhsa_kernel
	.text
.Lfunc_end22:
	.size	Transform_H_H_101_16_16_VW_1, .Lfunc_end22-Transform_H_H_101_16_16_VW_1
                                        ; -- End function
	.set Transform_H_H_101_16_16_VW_1.num_vgpr, max(42, .L__assert_fail.num_vgpr)
	.set Transform_H_H_101_16_16_VW_1.num_agpr, max(0, .L__assert_fail.num_agpr)
	.set Transform_H_H_101_16_16_VW_1.numbered_sgpr, max(33, .L__assert_fail.numbered_sgpr)
	.set Transform_H_H_101_16_16_VW_1.num_named_barrier, max(0, .L__assert_fail.num_named_barrier)
	.set Transform_H_H_101_16_16_VW_1.private_seg_size, 0+max(.L__assert_fail.private_seg_size)
	.set Transform_H_H_101_16_16_VW_1.uses_vcc, or(1, .L__assert_fail.uses_vcc)
	.set Transform_H_H_101_16_16_VW_1.uses_flat_scratch, or(1, .L__assert_fail.uses_flat_scratch)
	.set Transform_H_H_101_16_16_VW_1.has_dyn_sized_stack, or(0, .L__assert_fail.has_dyn_sized_stack)
	.set Transform_H_H_101_16_16_VW_1.has_recursion, or(0, .L__assert_fail.has_recursion)
	.set Transform_H_H_101_16_16_VW_1.has_indirect_call, or(0, .L__assert_fail.has_indirect_call)
	.section	.AMDGPU.csdata,"",@progbits
; Kernel info:
; codeLenInByte = 664
; TotalNumSgprs: 40
; NumVgprs: 42
; ScratchSize: 64
; MemoryBound: 0
; FloatMode: 240
; IeeeMode: 1
; LDSByteSize: 0 bytes/workgroup (compile time only)
; SGPRBlocks: 4
; VGPRBlocks: 10
; NumSGPRsForWavesPerEU: 40
; NumVGPRsForWavesPerEU: 42
; Occupancy: 5
; WaveLimiterHint : 1
; COMPUTE_PGM_RSRC2:SCRATCH_EN: 1
; COMPUTE_PGM_RSRC2:USER_SGPR: 8
; COMPUTE_PGM_RSRC2:TRAP_HANDLER: 0
; COMPUTE_PGM_RSRC2:TGID_X_EN: 1
; COMPUTE_PGM_RSRC2:TGID_Y_EN: 0
; COMPUTE_PGM_RSRC2:TGID_Z_EN: 1
; COMPUTE_PGM_RSRC2:TIDIG_COMP_CNT: 0
	.text
	.protected	Transform_H_H_101_16_16_VW_4 ; -- Begin function Transform_H_H_101_16_16_VW_4
	.globl	Transform_H_H_101_16_16_VW_4
	.p2align	8
	.type	Transform_H_H_101_16_16_VW_4,@function
Transform_H_H_101_16_16_VW_4:           ; @Transform_H_H_101_16_16_VW_4
; %bb.0:
	s_mov_b64 s[26:27], s[4:5]
	s_load_dword s4, s[4:5], 0x64
	s_add_u32 flat_scratch_lo, s6, s10
	s_addc_u32 flat_scratch_hi, s7, 0
	s_add_u32 s0, s0, s10
	s_addc_u32 s1, s1, 0
	s_waitcnt lgkmcnt(0)
	s_and_b32 s4, s4, 0xffff
	s_mov_b32 s29, s9
	s_mov_b32 s28, s8
	v_mov_b32_e32 v41, v0
	s_cmpk_eq_i32 s4, 0x100
	s_mov_b64 s[4:5], -1
	s_mov_b32 s32, 0
	s_cbranch_scc1 .LBB23_2
; %bb.1:
	s_add_u32 s8, s26, 0x58
	s_addc_u32 s9, s27, 0
	s_getpc_b64 s[4:5]
	s_add_u32 s4, s4, __PRETTY_FUNCTION__._ZN10amd_detail9transformIDF16_DF16_Lb1ELb0ELb1ELj16ELj16ELj4EEEvPT_PKS1_S4_T0_PKS5_S5_S7_jjjjjjbb@rel32@lo+4
	s_addc_u32 s5, s5, __PRETTY_FUNCTION__._ZN10amd_detail9transformIDF16_DF16_Lb1ELb0ELb1ELj16ELj16ELj4EEEvPT_PKS1_S4_T0_PKS5_S5_S7_jjjjjjbb@rel32@hi+12
	s_getpc_b64 s[6:7]
	s_add_u32 s6, s6, __assert_fail@rel32@lo+4
	s_addc_u32 s7, s7, __assert_fail@rel32@hi+12
	v_mov_b32_e32 v0, s4
	v_mov_b32_e32 v1, s5
	s_swappc_b64 s[30:31], s[6:7]
	s_mov_b64 s[4:5], 0
	; divergent unreachable
.LBB23_2:
	s_andn2_b64 vcc, exec, s[4:5]
	s_cbranch_vccnz .LBB23_54
; %bb.3:
	s_load_dwordx4 s[12:15], s[26:27], 0x38
	s_waitcnt lgkmcnt(0)
	s_lshr_b32 s6, s12, 4
	s_and_b32 s4, s12, 15
	s_cmp_lg_u32 s4, 0
	s_cselect_b64 s[4:5], -1, 0
	s_cmp_lg_u64 s[4:5], 0
	s_addc_u32 s6, s6, 0
	v_cvt_f32_u32_e32 v0, s6
	s_load_dword s8, s[26:27], 0x18
	s_load_dwordx2 s[4:5], s[26:27], 0x20
	s_sub_i32 s7, 0, s6
	v_rcp_iflag_f32_e32 v0, v0
	s_waitcnt lgkmcnt(0)
	v_mov_b32_e32 v12, s8
	v_mul_f32_e32 v0, 0x4f7ffffe, v0
	v_cvt_u32_f32_e32 v0, v0
	v_readfirstlane_b32 s9, v0
	s_mul_i32 s7, s7, s9
	s_mul_hi_u32 s7, s9, s7
	s_add_i32 s9, s9, s7
	s_mul_hi_u32 s7, s28, s9
	s_cmp_eq_u64 s[4:5], 0
	s_cbranch_scc1 .LBB23_5
; %bb.4:
	v_mov_b32_e32 v0, 0
	global_load_ushort v12, v0, s[4:5]
.LBB23_5:
	s_load_dwordx2 s[4:5], s[26:27], 0x30
	s_load_dword s8, s[26:27], 0x28
	s_waitcnt lgkmcnt(0)
	s_cmp_eq_u64 s[4:5], 0
	v_mov_b32_e32 v14, s8
	s_cbranch_scc1 .LBB23_7
; %bb.6:
	v_mov_b32_e32 v0, 0
	global_load_ushort v14, v0, s[4:5]
.LBB23_7:
	s_mul_i32 s4, s7, s6
	s_sub_i32 s4, s28, s4
	s_add_i32 s5, s7, 1
	s_sub_i32 s8, s4, s6
	s_cmp_ge_u32 s4, s6
	s_cselect_b32 s5, s5, s7
	s_cselect_b32 s4, s8, s4
	s_add_i32 s7, s5, 1
	s_cmp_ge_u32 s4, s6
	s_cselect_b32 s4, s7, s5
	s_mul_i32 s30, s4, s6
	s_sub_i32 s5, s28, s30
	v_and_b32_e32 v10, 15, v41
	v_lshl_or_b32 v1, s5, 4, v10
	v_cmp_gt_u32_e32 vcc, s12, v1
	s_and_saveexec_b64 s[6:7], vcc
	s_cbranch_execz .LBB23_54
; %bb.8:
	v_lshrrev_b32_e32 v0, 2, v41
	s_lshl_b32 s12, s4, 6
	v_and_b32_e32 v11, 0xfc, v0
	s_load_dwordx4 s[20:23], s[26:27], 0x48
	v_add_u32_e32 v9, s12, v11
	v_add_u32_e32 v13, 4, v9
	v_sub_u32_e64 v0, v13, s13 clamp
	s_load_dwordx4 s[16:19], s[26:27], 0x0
	s_load_dwordx2 s[24:25], s[26:27], 0x10
	v_sub_u32_e32 v2, v9, v0
	v_mad_u64_u32 v[5:6], s[4:5], v1, s14, v[2:3]
	s_waitcnt lgkmcnt(0)
	s_bitcmp1_b32 s22, 0
	s_cselect_b64 vcc, -1, 0
	s_cmp_lg_u64 s[18:19], 0
	s_mul_i32 s21, s21, s29
	s_cselect_b64 s[10:11], -1, 0
	s_cmp_eq_u64 s[18:19], 0
	v_mov_b32_e32 v15, 0
	v_mov_b32_e32 v16, 0
	s_cbranch_scc1 .LBB23_10
; %bb.9:
	v_mad_u64_u32 v[3:4], s[4:5], v2, s14, v[1:2]
	v_mov_b32_e32 v4, 0
	v_mov_b32_e32 v6, s19
	v_cndmask_b32_e32 v3, v5, v3, vcc
	v_add_u32_e32 v3, s21, v3
	v_lshlrev_b64 v[3:4], 1, v[3:4]
	v_add_co_u32_e64 v3, s[4:5], s18, v3
	v_addc_co_u32_e64 v4, s[4:5], v6, v4, s[4:5]
	global_load_ushort v16, v[3:4], off
.LBB23_10:
	s_load_dword s6, s[26:27], 0x50
	s_xor_b64 s[8:9], vcc, -1
	v_mad_u64_u32 v[3:4], s[4:5], v1, s15, v[2:3]
	s_waitcnt lgkmcnt(0)
	s_bitcmp1_b32 s6, 8
	s_cselect_b64 s[6:7], -1, 0
	s_cmp_lg_u64 s[24:25], 0
	s_cselect_b64 s[22:23], -1, 0
	s_cmp_eq_u64 s[24:25], 0
	s_cbranch_scc1 .LBB23_12
; %bb.11:
	v_mad_u64_u32 v[6:7], s[4:5], v2, s15, v[1:2]
	v_mov_b32_e32 v7, 0
	v_mov_b32_e32 v4, s25
	v_cndmask_b32_e64 v6, v6, v3, s[6:7]
	v_add_u32_e32 v6, s21, v6
	v_lshlrev_b64 v[6:7], 1, v[6:7]
	v_add_co_u32_e32 v6, vcc, s24, v6
	v_addc_co_u32_e32 v7, vcc, v4, v7, vcc
	global_load_ushort v15, v[6:7], off
.LBB23_12:
	v_cndmask_b32_e64 v4, 0, 1, s[8:9]
	v_cmp_ne_u32_e64 s[4:5], 1, v4
	s_andn2_b64 vcc, exec, s[8:9]
	s_cbranch_vccnz .LBB23_14
; %bb.13:
	v_add_u32_e32 v4, 1, v5
	s_xor_b64 s[8:9], s[6:7], -1
	s_cbranch_execz .LBB23_15
	s_branch .LBB23_16
.LBB23_14:
                                        ; implicit-def: $vgpr4
	s_xor_b64 s[8:9], s[6:7], -1
.LBB23_15:
	v_mul_lo_u32 v4, s14, v2
	v_add3_u32 v4, v4, s14, v1
.LBB23_16:
	v_cndmask_b32_e64 v6, 0, 1, s[8:9]
	v_cmp_ne_u32_e64 s[6:7], 1, v6
	s_andn2_b64 vcc, exec, s[8:9]
	s_cbranch_vccnz .LBB23_18
; %bb.17:
	v_mul_lo_u32 v6, s15, v2
	v_add3_u32 v6, v6, s15, v1
	s_cbranch_execz .LBB23_19
	s_branch .LBB23_20
.LBB23_18:
                                        ; implicit-def: $vgpr6
.LBB23_19:
	v_add_u32_e32 v6, 1, v3
.LBB23_20:
	v_cndmask_b32_e64 v7, 0, 1, s[10:11]
	v_mov_b32_e32 v17, 0
	v_cmp_ne_u32_e64 s[8:9], 1, v7
	s_andn2_b64 vcc, exec, s[10:11]
	v_mov_b32_e32 v18, 0
	s_cbranch_vccnz .LBB23_22
; %bb.21:
	v_add_u32_e32 v7, s21, v4
	v_mov_b32_e32 v8, 0
	v_lshlrev_b64 v[7:8], 1, v[7:8]
	v_mov_b32_e32 v4, s19
	v_add_co_u32_e32 v7, vcc, s18, v7
	v_addc_co_u32_e32 v8, vcc, v4, v8, vcc
	global_load_ushort v18, v[7:8], off
.LBB23_22:
	v_cndmask_b32_e64 v4, 0, 1, s[22:23]
	v_cmp_ne_u32_e64 s[10:11], 1, v4
	s_andn2_b64 vcc, exec, s[22:23]
	s_cbranch_vccnz .LBB23_24
; %bb.23:
	v_add_u32_e32 v6, s21, v6
	v_mov_b32_e32 v7, 0
	v_lshlrev_b64 v[6:7], 1, v[6:7]
	v_mov_b32_e32 v4, s25
	v_add_co_u32_e32 v6, vcc, s24, v6
	v_addc_co_u32_e32 v7, vcc, v4, v7, vcc
	global_load_ushort v17, v[6:7], off
.LBB23_24:
	s_and_b64 vcc, exec, s[4:5]
	s_cbranch_vccnz .LBB23_26
; %bb.25:
	v_add_u32_e32 v6, 2, v5
	v_add_u32_e32 v4, 2, v2
	s_cbranch_execz .LBB23_27
	s_branch .LBB23_28
.LBB23_26:
                                        ; implicit-def: $vgpr6
	v_add_u32_e32 v4, 2, v2
.LBB23_27:
	v_mad_u64_u32 v[6:7], s[22:23], v4, s14, v[1:2]
.LBB23_28:
	s_and_b64 vcc, exec, s[6:7]
	s_cbranch_vccnz .LBB23_30
; %bb.29:
	v_mad_u64_u32 v[7:8], s[22:23], v4, s15, v[1:2]
	s_cbranch_execz .LBB23_31
	s_branch .LBB23_32
.LBB23_30:
                                        ; implicit-def: $vgpr7
.LBB23_31:
	v_add_u32_e32 v7, 2, v3
.LBB23_32:
	v_mov_b32_e32 v8, 0
	s_and_b64 vcc, exec, s[8:9]
	v_mov_b32_e32 v19, 0
	s_cbranch_vccnz .LBB23_34
; %bb.33:
	v_add_u32_e32 v19, s21, v6
	v_mov_b32_e32 v20, 0
	v_lshlrev_b64 v[19:20], 1, v[19:20]
	v_mov_b32_e32 v4, s19
	v_add_co_u32_e32 v19, vcc, s18, v19
	v_addc_co_u32_e32 v20, vcc, v4, v20, vcc
	global_load_ushort v19, v[19:20], off
.LBB23_34:
	s_and_b64 vcc, exec, s[10:11]
	s_cbranch_vccnz .LBB23_36
; %bb.35:
	v_add_u32_e32 v6, s21, v7
	v_mov_b32_e32 v7, 0
	v_lshlrev_b64 v[6:7], 1, v[6:7]
	v_mov_b32_e32 v4, s25
	v_add_co_u32_e32 v6, vcc, s24, v6
	v_addc_co_u32_e32 v7, vcc, v4, v7, vcc
	global_load_ushort v8, v[6:7], off
.LBB23_36:
	s_and_b64 vcc, exec, s[4:5]
	s_cbranch_vccnz .LBB23_38
; %bb.37:
	v_add_u32_e32 v4, 3, v5
	v_add_u32_e32 v2, 3, v2
	s_cbranch_execz .LBB23_39
	s_branch .LBB23_40
.LBB23_38:
                                        ; implicit-def: $vgpr4
	v_add_u32_e32 v2, 3, v2
.LBB23_39:
	v_mad_u64_u32 v[4:5], s[4:5], v2, s14, v[1:2]
.LBB23_40:
	s_and_b64 vcc, exec, s[6:7]
	s_cbranch_vccnz .LBB23_42
; %bb.41:
	v_mad_u64_u32 v[5:6], s[4:5], v2, s15, v[1:2]
	s_cbranch_execz .LBB23_43
	s_branch .LBB23_44
.LBB23_42:
                                        ; implicit-def: $vgpr5
.LBB23_43:
	v_add_u32_e32 v5, 3, v3
.LBB23_44:
	v_mov_b32_e32 v3, 0
	s_and_b64 vcc, exec, s[8:9]
	v_mov_b32_e32 v6, 0
	s_cbranch_vccnz .LBB23_46
; %bb.45:
	v_add_u32_e32 v6, s21, v4
	v_mov_b32_e32 v7, 0
	v_lshlrev_b64 v[6:7], 1, v[6:7]
	v_mov_b32_e32 v2, s19
	v_add_co_u32_e32 v6, vcc, s18, v6
	v_addc_co_u32_e32 v7, vcc, v2, v7, vcc
	global_load_ushort v6, v[6:7], off
.LBB23_46:
	s_and_b64 vcc, exec, s[10:11]
	s_cbranch_vccnz .LBB23_48
; %bb.47:
	v_add_u32_e32 v2, s21, v5
	v_mov_b32_e32 v3, 0
	v_lshlrev_b64 v[2:3], 1, v[2:3]
	v_mov_b32_e32 v4, s25
	v_add_co_u32_e32 v2, vcc, s24, v2
	v_addc_co_u32_e32 v3, vcc, v4, v3, vcc
	global_load_ushort v3, v[2:3], off
.LBB23_48:
	s_mov_b32 s4, 0x5040100
	s_waitcnt vmcnt(0)
	v_perm_b32 v4, v17, v15, s4
	v_perm_b32 v2, v18, v16, s4
	v_pk_mul_f16 v4, v14, v4 op_sel_hi:[0,1]
	v_perm_b32 v3, v3, v8, s4
	v_pk_fma_f16 v2, v12, v2, v4 op_sel_hi:[0,1,1]
	v_perm_b32 v4, v6, v19, s4
	v_pk_mul_f16 v3, v14, v3 op_sel_hi:[0,1]
	v_pk_fma_f16 v3, v12, v4, v3 op_sel_hi:[0,1,1]
	v_cmp_ge_u32_e32 vcc, s13, v13
	s_and_saveexec_b64 s[4:5], vcc
	s_xor_b64 s[4:5], exec, s[4:5]
	s_cbranch_execz .LBB23_50
; %bb.49:
	v_mul_lo_u32 v4, v1, s20
	v_mov_b32_e32 v1, 0
	v_mov_b32_e32 v6, s17
                                        ; implicit-def: $vgpr13
                                        ; implicit-def: $vgpr10
                                        ; implicit-def: $vgpr11
	v_add3_u32 v4, v9, s21, v4
	v_sub_u32_e32 v0, v4, v0
	v_lshlrev_b64 v[4:5], 1, v[0:1]
                                        ; implicit-def: $vgpr9
	v_add_co_u32_e32 v4, vcc, s16, v4
	v_addc_co_u32_e32 v5, vcc, v6, v5, vcc
	global_store_short v[4:5], v2, off
	v_add_u32_e32 v4, 1, v0
	v_mov_b32_e32 v5, v1
	v_lshlrev_b64 v[4:5], 1, v[4:5]
	v_add_co_u32_e32 v4, vcc, s16, v4
	v_addc_co_u32_e32 v5, vcc, v6, v5, vcc
	global_store_short_d16_hi v[4:5], v2, off
	v_add_u32_e32 v4, 2, v0
	v_mov_b32_e32 v5, v1
	v_lshlrev_b64 v[4:5], 1, v[4:5]
	v_add_u32_e32 v0, 3, v0
	v_mov_b32_e32 v2, s17
	v_add_co_u32_e32 v4, vcc, s16, v4
	v_lshlrev_b64 v[0:1], 1, v[0:1]
	v_addc_co_u32_e32 v5, vcc, v2, v5, vcc
	v_add_co_u32_e32 v0, vcc, s16, v0
	v_addc_co_u32_e32 v1, vcc, v2, v1, vcc
	global_store_short v[4:5], v3, off
	global_store_short_d16_hi v[0:1], v3, off
                                        ; implicit-def: $vgpr0
                                        ; implicit-def: $vgpr2
.LBB23_50:
	s_andn2_saveexec_b64 s[4:5], s[4:5]
	s_cbranch_execz .LBB23_54
; %bb.51:
	v_cmp_gt_u32_e32 vcc, 4, v0
	s_and_b64 exec, exec, vcc
	s_cbranch_execz .LBB23_54
; %bb.52:
	v_lshl_or_b32 v4, s28, 4, v10
	s_lshl_b32 s4, s30, 4
	v_subrev_u32_e32 v4, s4, v4
	v_mul_lo_u32 v4, s20, v4
	v_min_u32_e32 v1, s13, v13
	v_sub_u32_e32 v1, v9, v1
	v_add_u32_e32 v6, 3, v1
	s_add_i32 s12, s12, s21
	v_mov_b32_e32 v1, 0
	v_add3_u32 v8, s12, v4, v11
	v_mov_b32_e32 v5, v1
	s_mov_b64 s[6:7], 0
	v_mov_b32_e32 v7, s17
	v_mov_b32_e32 v4, v0
	v_mov_b32_e32 v0, v8
.LBB23_53:                              ; =>This Inner Loop Header: Depth=1
	v_lshlrev_b32_e32 v10, 4, v4
	v_lshlrev_b64 v[8:9], 1, v[0:1]
	v_add_co_u32_e32 v4, vcc, 1, v4
	v_add_u32_e32 v6, 1, v6
	v_addc_co_u32_e32 v5, vcc, 0, v5, vcc
	v_lshrrev_b64 v[10:11], v10, v[2:3]
	v_cmp_lt_u32_e32 vcc, 2, v6
	v_add_co_u32_e64 v8, s[4:5], s16, v8
	v_add_u32_e32 v0, 1, v0
	v_addc_co_u32_e64 v9, s[4:5], v7, v9, s[4:5]
	s_or_b64 s[6:7], vcc, s[6:7]
	global_store_short v[8:9], v10, off
	s_andn2_b64 exec, exec, s[6:7]
	s_cbranch_execnz .LBB23_53
.LBB23_54:
	s_endpgm
	.section	.rodata,"a",@progbits
	.p2align	6, 0x0
	.amdhsa_kernel Transform_H_H_101_16_16_VW_4
		.amdhsa_group_segment_fixed_size 0
		.amdhsa_private_segment_fixed_size 64
		.amdhsa_kernarg_size 344
		.amdhsa_user_sgpr_count 8
		.amdhsa_user_sgpr_private_segment_buffer 1
		.amdhsa_user_sgpr_dispatch_ptr 0
		.amdhsa_user_sgpr_queue_ptr 0
		.amdhsa_user_sgpr_kernarg_segment_ptr 1
		.amdhsa_user_sgpr_dispatch_id 0
		.amdhsa_user_sgpr_flat_scratch_init 1
		.amdhsa_user_sgpr_private_segment_size 0
		.amdhsa_uses_dynamic_stack 0
		.amdhsa_system_sgpr_private_segment_wavefront_offset 1
		.amdhsa_system_sgpr_workgroup_id_x 1
		.amdhsa_system_sgpr_workgroup_id_y 0
		.amdhsa_system_sgpr_workgroup_id_z 1
		.amdhsa_system_sgpr_workgroup_info 0
		.amdhsa_system_vgpr_workitem_id 0
		.amdhsa_next_free_vgpr 42
		.amdhsa_next_free_sgpr 34
		.amdhsa_reserve_vcc 1
		.amdhsa_reserve_flat_scratch 1
		.amdhsa_float_round_mode_32 0
		.amdhsa_float_round_mode_16_64 0
		.amdhsa_float_denorm_mode_32 3
		.amdhsa_float_denorm_mode_16_64 3
		.amdhsa_dx10_clamp 1
		.amdhsa_ieee_mode 1
		.amdhsa_fp16_overflow 0
		.amdhsa_exception_fp_ieee_invalid_op 0
		.amdhsa_exception_fp_denorm_src 0
		.amdhsa_exception_fp_ieee_div_zero 0
		.amdhsa_exception_fp_ieee_overflow 0
		.amdhsa_exception_fp_ieee_underflow 0
		.amdhsa_exception_fp_ieee_inexact 0
		.amdhsa_exception_int_div_zero 0
	.end_amdhsa_kernel
	.text
.Lfunc_end23:
	.size	Transform_H_H_101_16_16_VW_4, .Lfunc_end23-Transform_H_H_101_16_16_VW_4
                                        ; -- End function
	.set Transform_H_H_101_16_16_VW_4.num_vgpr, max(42, .L__assert_fail.num_vgpr)
	.set Transform_H_H_101_16_16_VW_4.num_agpr, max(0, .L__assert_fail.num_agpr)
	.set Transform_H_H_101_16_16_VW_4.numbered_sgpr, max(33, .L__assert_fail.numbered_sgpr)
	.set Transform_H_H_101_16_16_VW_4.num_named_barrier, max(0, .L__assert_fail.num_named_barrier)
	.set Transform_H_H_101_16_16_VW_4.private_seg_size, 0+max(.L__assert_fail.private_seg_size)
	.set Transform_H_H_101_16_16_VW_4.uses_vcc, or(1, .L__assert_fail.uses_vcc)
	.set Transform_H_H_101_16_16_VW_4.uses_flat_scratch, or(1, .L__assert_fail.uses_flat_scratch)
	.set Transform_H_H_101_16_16_VW_4.has_dyn_sized_stack, or(0, .L__assert_fail.has_dyn_sized_stack)
	.set Transform_H_H_101_16_16_VW_4.has_recursion, or(0, .L__assert_fail.has_recursion)
	.set Transform_H_H_101_16_16_VW_4.has_indirect_call, or(0, .L__assert_fail.has_indirect_call)
	.section	.AMDGPU.csdata,"",@progbits
; Kernel info:
; codeLenInByte = 1620
; TotalNumSgprs: 40
; NumVgprs: 42
; ScratchSize: 64
; MemoryBound: 0
; FloatMode: 240
; IeeeMode: 1
; LDSByteSize: 0 bytes/workgroup (compile time only)
; SGPRBlocks: 4
; VGPRBlocks: 10
; NumSGPRsForWavesPerEU: 40
; NumVGPRsForWavesPerEU: 42
; Occupancy: 5
; WaveLimiterHint : 1
; COMPUTE_PGM_RSRC2:SCRATCH_EN: 1
; COMPUTE_PGM_RSRC2:USER_SGPR: 8
; COMPUTE_PGM_RSRC2:TRAP_HANDLER: 0
; COMPUTE_PGM_RSRC2:TGID_X_EN: 1
; COMPUTE_PGM_RSRC2:TGID_Y_EN: 0
; COMPUTE_PGM_RSRC2:TGID_Z_EN: 1
; COMPUTE_PGM_RSRC2:TIDIG_COMP_CNT: 0
	.text
	.protected	Transform_H_H_100_16_16_VW_1 ; -- Begin function Transform_H_H_100_16_16_VW_1
	.globl	Transform_H_H_100_16_16_VW_1
	.p2align	8
	.type	Transform_H_H_100_16_16_VW_1,@function
Transform_H_H_100_16_16_VW_1:           ; @Transform_H_H_100_16_16_VW_1
; %bb.0:
	s_mov_b64 s[26:27], s[4:5]
	s_load_dword s4, s[4:5], 0x64
	s_add_u32 flat_scratch_lo, s6, s10
	s_addc_u32 flat_scratch_hi, s7, 0
	s_add_u32 s0, s0, s10
	s_addc_u32 s1, s1, 0
	s_waitcnt lgkmcnt(0)
	s_and_b32 s4, s4, 0xffff
	s_mov_b32 s28, s9
	s_mov_b32 s29, s8
	v_mov_b32_e32 v41, v0
	s_cmpk_eq_i32 s4, 0x100
	s_mov_b64 s[4:5], -1
	s_mov_b32 s32, 0
	s_cbranch_scc1 .LBB24_2
; %bb.1:
	s_add_u32 s8, s26, 0x58
	s_addc_u32 s9, s27, 0
	s_getpc_b64 s[4:5]
	s_add_u32 s4, s4, __PRETTY_FUNCTION__._ZN10amd_detail9transformIDF16_DF16_Lb1ELb0ELb0ELj16ELj16ELj1EEEvPT_PKS1_S4_T0_PKS5_S5_S7_jjjjjjbb@rel32@lo+4
	s_addc_u32 s5, s5, __PRETTY_FUNCTION__._ZN10amd_detail9transformIDF16_DF16_Lb1ELb0ELb0ELj16ELj16ELj1EEEvPT_PKS1_S4_T0_PKS5_S5_S7_jjjjjjbb@rel32@hi+12
	s_getpc_b64 s[6:7]
	s_add_u32 s6, s6, __assert_fail@rel32@lo+4
	s_addc_u32 s7, s7, __assert_fail@rel32@hi+12
	v_mov_b32_e32 v0, s4
	v_mov_b32_e32 v1, s5
	s_swappc_b64 s[30:31], s[6:7]
	s_mov_b64 s[4:5], 0
	; divergent unreachable
.LBB24_2:
	s_andn2_b64 vcc, exec, s[4:5]
	s_cbranch_vccnz .LBB24_13
; %bb.3:
	s_load_dwordx8 s[4:11], s[26:27], 0x38
	s_waitcnt lgkmcnt(0)
	s_lshr_b32 s11, s4, 4
	s_and_b32 s12, s4, 15
	s_cmp_lg_u32 s12, 0
	s_cselect_b64 s[12:13], -1, 0
	s_cmp_lg_u64 s[12:13], 0
	s_addc_u32 s11, s11, 0
	v_cvt_f32_u32_e32 v0, s11
	s_load_dword s15, s[26:27], 0x18
	s_load_dwordx2 s[12:13], s[26:27], 0x20
	s_sub_i32 s14, 0, s11
	v_rcp_iflag_f32_e32 v0, v0
	v_mul_f32_e32 v0, 0x4f7ffffe, v0
	v_cvt_u32_f32_e32 v0, v0
	v_readfirstlane_b32 s16, v0
	s_mul_i32 s14, s14, s16
	s_mul_hi_u32 s14, s16, s14
	s_add_i32 s16, s16, s14
	s_mul_hi_u32 s14, s29, s16
	s_waitcnt lgkmcnt(0)
	s_cmp_eq_u64 s[12:13], 0
	v_mov_b32_e32 v0, s15
	s_cbranch_scc1 .LBB24_5
; %bb.4:
	v_mov_b32_e32 v0, 0
	global_load_ushort v0, v0, s[12:13]
.LBB24_5:
	s_load_dwordx2 s[12:13], s[26:27], 0x30
	s_load_dword s15, s[26:27], 0x28
	s_waitcnt lgkmcnt(0)
	s_cmp_eq_u64 s[12:13], 0
	v_mov_b32_e32 v1, s15
	s_cbranch_scc1 .LBB24_7
; %bb.6:
	v_mov_b32_e32 v1, 0
	global_load_ushort v1, v1, s[12:13]
.LBB24_7:
	s_mul_i32 s12, s14, s11
	s_sub_i32 s12, s29, s12
	s_add_i32 s13, s14, 1
	s_sub_i32 s15, s12, s11
	s_cmp_ge_u32 s12, s11
	s_cselect_b32 s13, s13, s14
	s_cselect_b32 s12, s15, s12
	s_add_i32 s14, s13, 1
	s_cmp_ge_u32 s12, s11
	s_cselect_b32 s12, s14, s13
	s_mul_i32 s11, s12, s11
	s_sub_i32 s11, s29, s11
	v_and_b32_e32 v2, 15, v41
	v_lshrrev_b32_e32 v3, 4, v41
	v_lshl_or_b32 v2, s11, 4, v2
	v_lshl_add_u32 v3, s12, 4, v3
	v_cmp_gt_u32_e32 vcc, s4, v2
	v_cmp_gt_u32_e64 s[4:5], s5, v3
	s_and_b64 s[4:5], vcc, s[4:5]
	s_and_saveexec_b64 s[12:13], s[4:5]
	s_cbranch_execz .LBB24_13
; %bb.8:
	s_load_dwordx4 s[12:15], s[26:27], 0x0
	s_load_dwordx2 s[4:5], s[26:27], 0x10
	s_mul_i32 s9, s9, s28
	v_mov_b32_e32 v5, 0
	v_mov_b32_e32 v4, 0
	s_waitcnt lgkmcnt(0)
	s_cmp_eq_u64 s[14:15], 0
	s_cbranch_scc1 .LBB24_10
; %bb.9:
	s_bitcmp1_b32 s10, 0
	s_cselect_b64 vcc, -1, 0
	v_cndmask_b32_e32 v4, v2, v3, vcc
	v_mul_lo_u32 v4, v4, s6
	v_cndmask_b32_e32 v6, v3, v2, vcc
	v_mov_b32_e32 v7, 0
	v_add3_u32 v6, v6, s9, v4
	v_lshlrev_b64 v[6:7], 1, v[6:7]
	v_mov_b32_e32 v4, s15
	v_add_co_u32_e32 v6, vcc, s14, v6
	v_addc_co_u32_e32 v7, vcc, v4, v7, vcc
	global_load_ushort v4, v[6:7], off
.LBB24_10:
	s_cmp_eq_u64 s[4:5], 0
	s_cbranch_scc1 .LBB24_12
; %bb.11:
	s_load_dword s6, s[26:27], 0x50
	v_mov_b32_e32 v6, 0
	v_mov_b32_e32 v7, s5
	s_waitcnt lgkmcnt(0)
	s_bitcmp1_b32 s6, 8
	s_cselect_b64 vcc, -1, 0
	v_cndmask_b32_e32 v5, v3, v2, vcc
	v_mul_lo_u32 v5, v5, s7
	v_cndmask_b32_e32 v8, v2, v3, vcc
	v_add3_u32 v5, v8, s9, v5
	v_lshlrev_b64 v[5:6], 1, v[5:6]
	v_add_co_u32_e32 v5, vcc, s4, v5
	v_addc_co_u32_e32 v6, vcc, v7, v6, vcc
	global_load_ushort v5, v[5:6], off
.LBB24_12:
	v_mul_lo_u32 v3, v3, s8
	s_waitcnt vmcnt(0)
	v_mul_f16_e32 v5, v1, v5
	v_mov_b32_e32 v1, 0
	v_fma_f16 v4, v0, v4, v5
	v_add3_u32 v0, v2, s9, v3
	v_lshlrev_b64 v[0:1], 1, v[0:1]
	v_mov_b32_e32 v2, s13
	v_add_co_u32_e32 v0, vcc, s12, v0
	v_addc_co_u32_e32 v1, vcc, v2, v1, vcc
	global_store_short v[0:1], v4, off
.LBB24_13:
	s_endpgm
	.section	.rodata,"a",@progbits
	.p2align	6, 0x0
	.amdhsa_kernel Transform_H_H_100_16_16_VW_1
		.amdhsa_group_segment_fixed_size 0
		.amdhsa_private_segment_fixed_size 64
		.amdhsa_kernarg_size 344
		.amdhsa_user_sgpr_count 8
		.amdhsa_user_sgpr_private_segment_buffer 1
		.amdhsa_user_sgpr_dispatch_ptr 0
		.amdhsa_user_sgpr_queue_ptr 0
		.amdhsa_user_sgpr_kernarg_segment_ptr 1
		.amdhsa_user_sgpr_dispatch_id 0
		.amdhsa_user_sgpr_flat_scratch_init 1
		.amdhsa_user_sgpr_private_segment_size 0
		.amdhsa_uses_dynamic_stack 0
		.amdhsa_system_sgpr_private_segment_wavefront_offset 1
		.amdhsa_system_sgpr_workgroup_id_x 1
		.amdhsa_system_sgpr_workgroup_id_y 0
		.amdhsa_system_sgpr_workgroup_id_z 1
		.amdhsa_system_sgpr_workgroup_info 0
		.amdhsa_system_vgpr_workitem_id 0
		.amdhsa_next_free_vgpr 42
		.amdhsa_next_free_sgpr 34
		.amdhsa_reserve_vcc 1
		.amdhsa_reserve_flat_scratch 1
		.amdhsa_float_round_mode_32 0
		.amdhsa_float_round_mode_16_64 0
		.amdhsa_float_denorm_mode_32 3
		.amdhsa_float_denorm_mode_16_64 3
		.amdhsa_dx10_clamp 1
		.amdhsa_ieee_mode 1
		.amdhsa_fp16_overflow 0
		.amdhsa_exception_fp_ieee_invalid_op 0
		.amdhsa_exception_fp_denorm_src 0
		.amdhsa_exception_fp_ieee_div_zero 0
		.amdhsa_exception_fp_ieee_overflow 0
		.amdhsa_exception_fp_ieee_underflow 0
		.amdhsa_exception_fp_ieee_inexact 0
		.amdhsa_exception_int_div_zero 0
	.end_amdhsa_kernel
	.text
.Lfunc_end24:
	.size	Transform_H_H_100_16_16_VW_1, .Lfunc_end24-Transform_H_H_100_16_16_VW_1
                                        ; -- End function
	.set Transform_H_H_100_16_16_VW_1.num_vgpr, max(42, .L__assert_fail.num_vgpr)
	.set Transform_H_H_100_16_16_VW_1.num_agpr, max(0, .L__assert_fail.num_agpr)
	.set Transform_H_H_100_16_16_VW_1.numbered_sgpr, max(33, .L__assert_fail.numbered_sgpr)
	.set Transform_H_H_100_16_16_VW_1.num_named_barrier, max(0, .L__assert_fail.num_named_barrier)
	.set Transform_H_H_100_16_16_VW_1.private_seg_size, 0+max(.L__assert_fail.private_seg_size)
	.set Transform_H_H_100_16_16_VW_1.uses_vcc, or(1, .L__assert_fail.uses_vcc)
	.set Transform_H_H_100_16_16_VW_1.uses_flat_scratch, or(1, .L__assert_fail.uses_flat_scratch)
	.set Transform_H_H_100_16_16_VW_1.has_dyn_sized_stack, or(0, .L__assert_fail.has_dyn_sized_stack)
	.set Transform_H_H_100_16_16_VW_1.has_recursion, or(0, .L__assert_fail.has_recursion)
	.set Transform_H_H_100_16_16_VW_1.has_indirect_call, or(0, .L__assert_fail.has_indirect_call)
	.section	.AMDGPU.csdata,"",@progbits
; Kernel info:
; codeLenInByte = 664
; TotalNumSgprs: 40
; NumVgprs: 42
; ScratchSize: 64
; MemoryBound: 0
; FloatMode: 240
; IeeeMode: 1
; LDSByteSize: 0 bytes/workgroup (compile time only)
; SGPRBlocks: 4
; VGPRBlocks: 10
; NumSGPRsForWavesPerEU: 40
; NumVGPRsForWavesPerEU: 42
; Occupancy: 5
; WaveLimiterHint : 1
; COMPUTE_PGM_RSRC2:SCRATCH_EN: 1
; COMPUTE_PGM_RSRC2:USER_SGPR: 8
; COMPUTE_PGM_RSRC2:TRAP_HANDLER: 0
; COMPUTE_PGM_RSRC2:TGID_X_EN: 1
; COMPUTE_PGM_RSRC2:TGID_Y_EN: 0
; COMPUTE_PGM_RSRC2:TGID_Z_EN: 1
; COMPUTE_PGM_RSRC2:TIDIG_COMP_CNT: 0
	.text
	.protected	Transform_H_H_100_16_16_VW_4 ; -- Begin function Transform_H_H_100_16_16_VW_4
	.globl	Transform_H_H_100_16_16_VW_4
	.p2align	8
	.type	Transform_H_H_100_16_16_VW_4,@function
Transform_H_H_100_16_16_VW_4:           ; @Transform_H_H_100_16_16_VW_4
; %bb.0:
	s_mov_b64 s[26:27], s[4:5]
	s_load_dword s4, s[4:5], 0x64
	s_add_u32 flat_scratch_lo, s6, s10
	s_addc_u32 flat_scratch_hi, s7, 0
	s_add_u32 s0, s0, s10
	s_addc_u32 s1, s1, 0
	s_waitcnt lgkmcnt(0)
	s_and_b32 s4, s4, 0xffff
	s_mov_b32 s29, s9
	s_mov_b32 s28, s8
	v_mov_b32_e32 v41, v0
	s_cmpk_eq_i32 s4, 0x100
	s_mov_b64 s[4:5], -1
	s_mov_b32 s32, 0
	s_cbranch_scc1 .LBB25_2
; %bb.1:
	s_add_u32 s8, s26, 0x58
	s_addc_u32 s9, s27, 0
	s_getpc_b64 s[4:5]
	s_add_u32 s4, s4, __PRETTY_FUNCTION__._ZN10amd_detail9transformIDF16_DF16_Lb1ELb0ELb0ELj16ELj16ELj4EEEvPT_PKS1_S4_T0_PKS5_S5_S7_jjjjjjbb@rel32@lo+4
	s_addc_u32 s5, s5, __PRETTY_FUNCTION__._ZN10amd_detail9transformIDF16_DF16_Lb1ELb0ELb0ELj16ELj16ELj4EEEvPT_PKS1_S4_T0_PKS5_S5_S7_jjjjjjbb@rel32@hi+12
	s_getpc_b64 s[6:7]
	s_add_u32 s6, s6, __assert_fail@rel32@lo+4
	s_addc_u32 s7, s7, __assert_fail@rel32@hi+12
	v_mov_b32_e32 v0, s4
	v_mov_b32_e32 v1, s5
	s_swappc_b64 s[30:31], s[6:7]
	s_mov_b64 s[4:5], 0
	; divergent unreachable
.LBB25_2:
	s_andn2_b64 vcc, exec, s[4:5]
	s_cbranch_vccnz .LBB25_54
; %bb.3:
	s_load_dwordx8 s[12:19], s[26:27], 0x38
	s_waitcnt lgkmcnt(0)
	s_lshr_b32 s6, s12, 6
	s_and_b32 s4, s12, 63
	s_cmp_lg_u32 s4, 0
	s_cselect_b64 s[4:5], -1, 0
	s_cmp_lg_u64 s[4:5], 0
	s_addc_u32 s6, s6, 0
	v_cvt_f32_u32_e32 v0, s6
	s_load_dword s8, s[26:27], 0x18
	s_load_dwordx2 s[4:5], s[26:27], 0x20
	s_sub_i32 s7, 0, s6
	v_rcp_iflag_f32_e32 v0, v0
	s_waitcnt lgkmcnt(0)
	v_mov_b32_e32 v7, s8
	v_mul_f32_e32 v0, 0x4f7ffffe, v0
	v_cvt_u32_f32_e32 v0, v0
	v_readfirstlane_b32 s9, v0
	s_mul_i32 s7, s7, s9
	s_mul_hi_u32 s7, s9, s7
	s_add_i32 s9, s9, s7
	s_mul_hi_u32 s7, s28, s9
	s_cmp_eq_u64 s[4:5], 0
	s_cbranch_scc1 .LBB25_5
; %bb.4:
	v_mov_b32_e32 v0, 0
	global_load_ushort v7, v0, s[4:5]
.LBB25_5:
	s_load_dwordx2 s[4:5], s[26:27], 0x30
	s_load_dword s8, s[26:27], 0x28
	s_waitcnt lgkmcnt(0)
	s_cmp_eq_u64 s[4:5], 0
	v_mov_b32_e32 v9, s8
	s_cbranch_scc1 .LBB25_7
; %bb.6:
	v_mov_b32_e32 v0, 0
	global_load_ushort v9, v0, s[4:5]
.LBB25_7:
	s_mul_i32 s4, s7, s6
	s_sub_i32 s4, s28, s4
	s_add_i32 s5, s7, 1
	s_sub_i32 s8, s4, s6
	s_cmp_ge_u32 s4, s6
	s_cselect_b32 s5, s5, s7
	s_cselect_b32 s4, s8, s4
	s_add_i32 s7, s5, 1
	s_cmp_ge_u32 s4, s6
	s_cselect_b32 s30, s7, s5
	v_lshrrev_b32_e32 v0, 4, v41
	v_lshl_add_u32 v0, s30, 4, v0
	v_cmp_gt_u32_e32 vcc, s13, v0
	s_and_saveexec_b64 s[4:5], vcc
	s_cbranch_execz .LBB25_54
; %bb.8:
	s_mul_i32 s30, s30, s6
	v_lshlrev_b32_e32 v1, 2, v41
	s_sub_i32 s4, s28, s30
	v_and_b32_e32 v8, 60, v1
	v_lshl_or_b32 v11, s4, 6, v8
	v_add_u32_e32 v12, 4, v11
	s_load_dwordx4 s[20:23], s[26:27], 0x0
	s_load_dwordx2 s[24:25], s[26:27], 0x10
	v_sub_u32_e64 v10, v12, s12 clamp
	v_sub_u32_e32 v3, v11, v10
	v_mad_u64_u32 v[1:2], s[4:5], v0, s14, v[3:4]
	s_bitcmp1_b32 s18, 0
	s_cselect_b64 vcc, -1, 0
	s_waitcnt lgkmcnt(0)
	s_cmp_lg_u64 s[22:23], 0
	s_mul_i32 s13, s17, s29
	s_cselect_b64 s[10:11], -1, 0
	s_cmp_eq_u64 s[22:23], 0
	v_mov_b32_e32 v13, 0
	v_mov_b32_e32 v14, 0
	s_cbranch_scc1 .LBB25_10
; %bb.9:
	v_mad_u64_u32 v[4:5], s[4:5], v3, s14, v[0:1]
	v_mov_b32_e32 v5, 0
	v_mov_b32_e32 v2, s23
	v_cndmask_b32_e32 v4, v4, v1, vcc
	v_add_u32_e32 v4, s13, v4
	v_lshlrev_b64 v[4:5], 1, v[4:5]
	v_add_co_u32_e64 v4, s[4:5], s22, v4
	v_addc_co_u32_e64 v5, s[4:5], v2, v5, s[4:5]
	global_load_ushort v14, v[4:5], off
.LBB25_10:
	s_load_dword s6, s[26:27], 0x50
	s_xor_b64 s[8:9], vcc, -1
	v_mad_u64_u32 v[4:5], s[4:5], v0, s15, v[3:4]
	v_mul_lo_u32 v15, v3, s15
	s_waitcnt lgkmcnt(0)
	s_bitcmp1_b32 s6, 8
	s_cselect_b64 s[6:7], -1, 0
	s_cmp_lg_u64 s[24:25], 0
	s_cselect_b64 s[18:19], -1, 0
	s_cmp_eq_u64 s[24:25], 0
	s_cbranch_scc1 .LBB25_12
; %bb.11:
	v_add_u32_e32 v2, v15, v0
	v_cndmask_b32_e64 v2, v4, v2, s[6:7]
	v_add_u32_e32 v5, s13, v2
	v_mov_b32_e32 v6, 0
	v_lshlrev_b64 v[5:6], 1, v[5:6]
	v_mov_b32_e32 v2, s25
	v_add_co_u32_e32 v5, vcc, s24, v5
	v_addc_co_u32_e32 v6, vcc, v2, v6, vcc
	global_load_ushort v13, v[5:6], off
.LBB25_12:
	v_cndmask_b32_e64 v2, 0, 1, s[8:9]
	v_cmp_ne_u32_e64 s[4:5], 1, v2
	s_andn2_b64 vcc, exec, s[8:9]
	s_cbranch_vccnz .LBB25_14
; %bb.13:
	v_mul_lo_u32 v2, s14, v3
	v_add3_u32 v2, v2, s14, v0
	s_xor_b64 s[8:9], s[6:7], -1
	s_cbranch_execz .LBB25_15
	s_branch .LBB25_16
.LBB25_14:
                                        ; implicit-def: $vgpr2
	s_xor_b64 s[8:9], s[6:7], -1
.LBB25_15:
	v_add_u32_e32 v2, 1, v1
.LBB25_16:
	v_cndmask_b32_e64 v5, 0, 1, s[8:9]
	v_cmp_ne_u32_e64 s[6:7], 1, v5
	s_andn2_b64 vcc, exec, s[8:9]
	s_cbranch_vccnz .LBB25_18
; %bb.17:
	v_add_u32_e32 v5, 1, v4
	s_cbranch_execz .LBB25_19
	s_branch .LBB25_20
.LBB25_18:
                                        ; implicit-def: $vgpr5
.LBB25_19:
	v_add3_u32 v5, v15, s15, v0
.LBB25_20:
	v_cndmask_b32_e64 v6, 0, 1, s[10:11]
	v_mov_b32_e32 v16, 0
	v_cmp_ne_u32_e64 s[8:9], 1, v6
	s_andn2_b64 vcc, exec, s[10:11]
	v_mov_b32_e32 v17, 0
	s_cbranch_vccnz .LBB25_22
; %bb.21:
	v_add_u32_e32 v17, s13, v2
	v_mov_b32_e32 v18, 0
	v_lshlrev_b64 v[17:18], 1, v[17:18]
	v_mov_b32_e32 v2, s23
	v_add_co_u32_e32 v17, vcc, s22, v17
	v_addc_co_u32_e32 v18, vcc, v2, v18, vcc
	global_load_ushort v17, v[17:18], off
.LBB25_22:
	v_cndmask_b32_e64 v2, 0, 1, s[18:19]
	v_cmp_ne_u32_e64 s[10:11], 1, v2
	s_andn2_b64 vcc, exec, s[18:19]
	s_cbranch_vccnz .LBB25_24
; %bb.23:
	v_add_u32_e32 v5, s13, v5
	v_mov_b32_e32 v6, 0
	v_lshlrev_b64 v[5:6], 1, v[5:6]
	v_mov_b32_e32 v2, s25
	v_add_co_u32_e32 v5, vcc, s24, v5
	v_addc_co_u32_e32 v6, vcc, v2, v6, vcc
	global_load_ushort v16, v[5:6], off
.LBB25_24:
	s_and_b64 vcc, exec, s[4:5]
	s_cbranch_vccnz .LBB25_26
; %bb.25:
	v_add_u32_e32 v2, 2, v3
	v_mad_u64_u32 v[5:6], s[18:19], v2, s14, v[0:1]
	s_cbranch_execz .LBB25_27
	s_branch .LBB25_28
.LBB25_26:
                                        ; implicit-def: $vgpr5
.LBB25_27:
	v_add_u32_e32 v5, 2, v1
.LBB25_28:
	s_and_b64 vcc, exec, s[6:7]
	s_cbranch_vccnz .LBB25_30
; %bb.29:
	v_add_u32_e32 v2, 2, v4
	s_cbranch_execz .LBB25_31
	s_branch .LBB25_32
.LBB25_30:
                                        ; implicit-def: $vgpr2
.LBB25_31:
	s_lshl_b32 s17, s15, 1
	v_add3_u32 v2, v15, s17, v0
.LBB25_32:
	v_mov_b32_e32 v6, 0
	s_and_b64 vcc, exec, s[8:9]
	v_mov_b32_e32 v18, 0
	s_cbranch_vccnz .LBB25_34
; %bb.33:
	v_add_u32_e32 v18, s13, v5
	v_mov_b32_e32 v19, 0
	v_lshlrev_b64 v[18:19], 1, v[18:19]
	v_mov_b32_e32 v5, s23
	v_add_co_u32_e32 v18, vcc, s22, v18
	v_addc_co_u32_e32 v19, vcc, v5, v19, vcc
	global_load_ushort v18, v[18:19], off
.LBB25_34:
	s_and_b64 vcc, exec, s[10:11]
	s_cbranch_vccnz .LBB25_36
; %bb.35:
	v_add_u32_e32 v5, s13, v2
	v_mov_b32_e32 v6, 0
	v_lshlrev_b64 v[5:6], 1, v[5:6]
	v_mov_b32_e32 v2, s25
	v_add_co_u32_e32 v5, vcc, s24, v5
	v_addc_co_u32_e32 v6, vcc, v2, v6, vcc
	global_load_ushort v6, v[5:6], off
.LBB25_36:
	s_and_b64 vcc, exec, s[4:5]
	s_cbranch_vccnz .LBB25_38
; %bb.37:
	v_add_u32_e32 v2, 3, v3
	v_mad_u64_u32 v[2:3], s[4:5], v2, s14, v[0:1]
	s_cbranch_execz .LBB25_39
	s_branch .LBB25_40
.LBB25_38:
                                        ; implicit-def: $vgpr2
.LBB25_39:
	v_add_u32_e32 v2, 3, v1
.LBB25_40:
	s_and_b64 vcc, exec, s[6:7]
	s_cbranch_vccnz .LBB25_42
; %bb.41:
	v_add_u32_e32 v1, 3, v4
	s_cbranch_execz .LBB25_43
	s_branch .LBB25_44
.LBB25_42:
                                        ; implicit-def: $vgpr1
.LBB25_43:
	s_mul_i32 s4, s15, 3
	v_add3_u32 v1, v15, s4, v0
.LBB25_44:
	v_mov_b32_e32 v3, 0
	s_and_b64 vcc, exec, s[8:9]
	v_mov_b32_e32 v4, 0
	s_cbranch_vccnz .LBB25_46
; %bb.45:
	v_add_u32_e32 v4, s13, v2
	v_mov_b32_e32 v5, 0
	v_lshlrev_b64 v[4:5], 1, v[4:5]
	v_mov_b32_e32 v2, s23
	v_add_co_u32_e32 v4, vcc, s22, v4
	v_addc_co_u32_e32 v5, vcc, v2, v5, vcc
	global_load_ushort v4, v[4:5], off
.LBB25_46:
	s_and_b64 vcc, exec, s[10:11]
	s_cbranch_vccnz .LBB25_48
; %bb.47:
	v_add_u32_e32 v1, s13, v1
	v_mov_b32_e32 v2, 0
	v_lshlrev_b64 v[1:2], 1, v[1:2]
	v_mov_b32_e32 v3, s25
	v_add_co_u32_e32 v1, vcc, s24, v1
	v_addc_co_u32_e32 v2, vcc, v3, v2, vcc
	global_load_ushort v3, v[1:2], off
.LBB25_48:
	s_mov_b32 s4, 0x5040100
	s_waitcnt vmcnt(0)
	v_perm_b32 v2, v16, v13, s4
	v_perm_b32 v1, v17, v14, s4
	v_pk_mul_f16 v2, v9, v2 op_sel_hi:[0,1]
	v_pk_fma_f16 v1, v7, v1, v2 op_sel_hi:[0,1,1]
	v_perm_b32 v2, v4, v18, s4
	v_perm_b32 v4, v3, v6, s4
	v_mul_lo_u32 v3, v0, s16
	v_pk_mul_f16 v0, v9, v4 op_sel_hi:[0,1]
	v_pk_fma_f16 v2, v7, v2, v0 op_sel_hi:[0,1,1]
	v_cmp_ge_u32_e32 vcc, s12, v12
	s_and_saveexec_b64 s[4:5], vcc
	s_xor_b64 s[4:5], exec, s[4:5]
	s_cbranch_execz .LBB25_50
; %bb.49:
	v_add_u32_e32 v0, s13, v11
	v_sub_u32_e32 v0, v0, v10
	v_add_u32_e32 v3, v0, v3
	v_mov_b32_e32 v4, 0
	v_lshlrev_b64 v[5:6], 1, v[3:4]
	v_mov_b32_e32 v0, s21
	v_add_co_u32_e32 v5, vcc, s20, v5
	v_addc_co_u32_e32 v6, vcc, v0, v6, vcc
	global_store_short v[5:6], v1, off
	v_add_u32_e32 v5, 1, v3
	v_mov_b32_e32 v6, v4
	v_lshlrev_b64 v[5:6], 1, v[5:6]
                                        ; implicit-def: $vgpr10
                                        ; implicit-def: $vgpr8
	v_add_co_u32_e32 v5, vcc, s20, v5
	v_addc_co_u32_e32 v6, vcc, v0, v6, vcc
	global_store_short_d16_hi v[5:6], v1, off
	v_add_u32_e32 v0, 2, v3
	v_mov_b32_e32 v1, v4
	v_lshlrev_b64 v[0:1], 1, v[0:1]
	v_mov_b32_e32 v5, s21
	v_add_co_u32_e32 v0, vcc, s20, v0
	v_addc_co_u32_e32 v1, vcc, v5, v1, vcc
	v_add_u32_e32 v3, 3, v3
	global_store_short v[0:1], v2, off
	v_lshlrev_b64 v[0:1], 1, v[3:4]
	v_mov_b32_e32 v3, s21
	v_add_co_u32_e32 v0, vcc, s20, v0
	v_addc_co_u32_e32 v1, vcc, v3, v1, vcc
	global_store_short_d16_hi v[0:1], v2, off
                                        ; implicit-def: $vgpr1
                                        ; implicit-def: $vgpr3
.LBB25_50:
	s_andn2_saveexec_b64 s[4:5], s[4:5]
	s_cbranch_execz .LBB25_54
; %bb.51:
	v_cmp_gt_u32_e32 vcc, 4, v10
	s_and_b64 exec, exec, vcc
	s_cbranch_execz .LBB25_54
; %bb.52:
	v_lshl_or_b32 v4, s28, 6, v8
	s_lshl_b32 s4, s30, 6
	v_subrev_u32_e32 v0, s4, v4
	v_add_u32_e32 v5, 4, v0
	v_min_u32_e32 v6, s12, v5
	v_add3_u32 v3, s13, v3, v4
	v_mov_b32_e32 v4, 0
	v_sub_u32_e32 v0, v0, v6
	v_subrev_u32_e32 v8, s4, v3
	v_sub_u32_e32 v3, v5, v6
	v_mov_b32_e32 v6, v4
	v_add_u32_e32 v0, 3, v0
	s_mov_b64 s[6:7], 0
	v_mov_b32_e32 v7, s21
	v_mov_b32_e32 v5, v3
	;; [unrolled: 1-line block ×3, first 2 shown]
.LBB25_53:                              ; =>This Inner Loop Header: Depth=1
	v_lshlrev_b32_e32 v10, 4, v5
	v_lshlrev_b64 v[8:9], 1, v[3:4]
	v_add_co_u32_e32 v5, vcc, 1, v5
	v_add_u32_e32 v0, 1, v0
	v_addc_co_u32_e32 v6, vcc, 0, v6, vcc
	v_lshrrev_b64 v[10:11], v10, v[1:2]
	v_cmp_lt_u32_e32 vcc, 2, v0
	v_add_co_u32_e64 v8, s[4:5], s20, v8
	v_add_u32_e32 v3, 1, v3
	v_addc_co_u32_e64 v9, s[4:5], v7, v9, s[4:5]
	s_or_b64 s[6:7], vcc, s[6:7]
	global_store_short v[8:9], v10, off
	s_andn2_b64 exec, exec, s[6:7]
	s_cbranch_execnz .LBB25_53
.LBB25_54:
	s_endpgm
	.section	.rodata,"a",@progbits
	.p2align	6, 0x0
	.amdhsa_kernel Transform_H_H_100_16_16_VW_4
		.amdhsa_group_segment_fixed_size 0
		.amdhsa_private_segment_fixed_size 64
		.amdhsa_kernarg_size 344
		.amdhsa_user_sgpr_count 8
		.amdhsa_user_sgpr_private_segment_buffer 1
		.amdhsa_user_sgpr_dispatch_ptr 0
		.amdhsa_user_sgpr_queue_ptr 0
		.amdhsa_user_sgpr_kernarg_segment_ptr 1
		.amdhsa_user_sgpr_dispatch_id 0
		.amdhsa_user_sgpr_flat_scratch_init 1
		.amdhsa_user_sgpr_private_segment_size 0
		.amdhsa_uses_dynamic_stack 0
		.amdhsa_system_sgpr_private_segment_wavefront_offset 1
		.amdhsa_system_sgpr_workgroup_id_x 1
		.amdhsa_system_sgpr_workgroup_id_y 0
		.amdhsa_system_sgpr_workgroup_id_z 1
		.amdhsa_system_sgpr_workgroup_info 0
		.amdhsa_system_vgpr_workitem_id 0
		.amdhsa_next_free_vgpr 42
		.amdhsa_next_free_sgpr 34
		.amdhsa_reserve_vcc 1
		.amdhsa_reserve_flat_scratch 1
		.amdhsa_float_round_mode_32 0
		.amdhsa_float_round_mode_16_64 0
		.amdhsa_float_denorm_mode_32 3
		.amdhsa_float_denorm_mode_16_64 3
		.amdhsa_dx10_clamp 1
		.amdhsa_ieee_mode 1
		.amdhsa_fp16_overflow 0
		.amdhsa_exception_fp_ieee_invalid_op 0
		.amdhsa_exception_fp_denorm_src 0
		.amdhsa_exception_fp_ieee_div_zero 0
		.amdhsa_exception_fp_ieee_overflow 0
		.amdhsa_exception_fp_ieee_underflow 0
		.amdhsa_exception_fp_ieee_inexact 0
		.amdhsa_exception_int_div_zero 0
	.end_amdhsa_kernel
	.text
.Lfunc_end25:
	.size	Transform_H_H_100_16_16_VW_4, .Lfunc_end25-Transform_H_H_100_16_16_VW_4
                                        ; -- End function
	.set Transform_H_H_100_16_16_VW_4.num_vgpr, max(42, .L__assert_fail.num_vgpr)
	.set Transform_H_H_100_16_16_VW_4.num_agpr, max(0, .L__assert_fail.num_agpr)
	.set Transform_H_H_100_16_16_VW_4.numbered_sgpr, max(33, .L__assert_fail.numbered_sgpr)
	.set Transform_H_H_100_16_16_VW_4.num_named_barrier, max(0, .L__assert_fail.num_named_barrier)
	.set Transform_H_H_100_16_16_VW_4.private_seg_size, 0+max(.L__assert_fail.private_seg_size)
	.set Transform_H_H_100_16_16_VW_4.uses_vcc, or(1, .L__assert_fail.uses_vcc)
	.set Transform_H_H_100_16_16_VW_4.uses_flat_scratch, or(1, .L__assert_fail.uses_flat_scratch)
	.set Transform_H_H_100_16_16_VW_4.has_dyn_sized_stack, or(0, .L__assert_fail.has_dyn_sized_stack)
	.set Transform_H_H_100_16_16_VW_4.has_recursion, or(0, .L__assert_fail.has_recursion)
	.set Transform_H_H_100_16_16_VW_4.has_indirect_call, or(0, .L__assert_fail.has_indirect_call)
	.section	.AMDGPU.csdata,"",@progbits
; Kernel info:
; codeLenInByte = 1608
; TotalNumSgprs: 40
; NumVgprs: 42
; ScratchSize: 64
; MemoryBound: 0
; FloatMode: 240
; IeeeMode: 1
; LDSByteSize: 0 bytes/workgroup (compile time only)
; SGPRBlocks: 4
; VGPRBlocks: 10
; NumSGPRsForWavesPerEU: 40
; NumVGPRsForWavesPerEU: 42
; Occupancy: 5
; WaveLimiterHint : 1
; COMPUTE_PGM_RSRC2:SCRATCH_EN: 1
; COMPUTE_PGM_RSRC2:USER_SGPR: 8
; COMPUTE_PGM_RSRC2:TRAP_HANDLER: 0
; COMPUTE_PGM_RSRC2:TGID_X_EN: 1
; COMPUTE_PGM_RSRC2:TGID_Y_EN: 0
; COMPUTE_PGM_RSRC2:TGID_Z_EN: 1
; COMPUTE_PGM_RSRC2:TIDIG_COMP_CNT: 0
	.text
	.protected	Transform_H_H_011_16_16_VW_1 ; -- Begin function Transform_H_H_011_16_16_VW_1
	.globl	Transform_H_H_011_16_16_VW_1
	.p2align	8
	.type	Transform_H_H_011_16_16_VW_1,@function
Transform_H_H_011_16_16_VW_1:           ; @Transform_H_H_011_16_16_VW_1
; %bb.0:
	s_mov_b64 s[26:27], s[4:5]
	s_load_dword s4, s[4:5], 0x64
	s_add_u32 flat_scratch_lo, s6, s10
	s_addc_u32 flat_scratch_hi, s7, 0
	s_add_u32 s0, s0, s10
	s_addc_u32 s1, s1, 0
	s_waitcnt lgkmcnt(0)
	s_and_b32 s4, s4, 0xffff
	s_mov_b32 s28, s9
	s_mov_b32 s29, s8
	v_mov_b32_e32 v41, v0
	s_cmpk_eq_i32 s4, 0x100
	s_mov_b64 s[4:5], -1
	s_mov_b32 s32, 0
	s_cbranch_scc1 .LBB26_2
; %bb.1:
	s_add_u32 s8, s26, 0x58
	s_addc_u32 s9, s27, 0
	s_getpc_b64 s[4:5]
	s_add_u32 s4, s4, __PRETTY_FUNCTION__._ZN10amd_detail9transformIDF16_DF16_Lb0ELb1ELb1ELj16ELj16ELj1EEEvPT_PKS1_S4_T0_PKS5_S5_S7_jjjjjjbb@rel32@lo+4
	s_addc_u32 s5, s5, __PRETTY_FUNCTION__._ZN10amd_detail9transformIDF16_DF16_Lb0ELb1ELb1ELj16ELj16ELj1EEEvPT_PKS1_S4_T0_PKS5_S5_S7_jjjjjjbb@rel32@hi+12
	s_getpc_b64 s[6:7]
	s_add_u32 s6, s6, __assert_fail@rel32@lo+4
	s_addc_u32 s7, s7, __assert_fail@rel32@hi+12
	v_mov_b32_e32 v0, s4
	v_mov_b32_e32 v1, s5
	s_swappc_b64 s[30:31], s[6:7]
	s_mov_b64 s[4:5], 0
	; divergent unreachable
.LBB26_2:
	s_andn2_b64 vcc, exec, s[4:5]
	s_cbranch_vccnz .LBB26_13
; %bb.3:
	s_load_dwordx8 s[4:11], s[26:27], 0x38
	s_waitcnt lgkmcnt(0)
	s_lshr_b32 s11, s4, 4
	s_and_b32 s12, s4, 15
	s_cmp_lg_u32 s12, 0
	s_cselect_b64 s[12:13], -1, 0
	s_cmp_lg_u64 s[12:13], 0
	s_addc_u32 s11, s11, 0
	v_cvt_f32_u32_e32 v0, s11
	s_load_dword s15, s[26:27], 0x18
	s_load_dwordx2 s[12:13], s[26:27], 0x20
	s_sub_i32 s14, 0, s11
	v_rcp_iflag_f32_e32 v0, v0
	v_mul_f32_e32 v0, 0x4f7ffffe, v0
	v_cvt_u32_f32_e32 v0, v0
	v_readfirstlane_b32 s16, v0
	s_mul_i32 s14, s14, s16
	s_mul_hi_u32 s14, s16, s14
	s_add_i32 s16, s16, s14
	s_mul_hi_u32 s14, s29, s16
	s_waitcnt lgkmcnt(0)
	s_cmp_eq_u64 s[12:13], 0
	v_mov_b32_e32 v0, s15
	s_cbranch_scc1 .LBB26_5
; %bb.4:
	v_mov_b32_e32 v0, 0
	global_load_ushort v0, v0, s[12:13]
.LBB26_5:
	s_load_dwordx2 s[12:13], s[26:27], 0x30
	s_load_dword s15, s[26:27], 0x28
	s_waitcnt lgkmcnt(0)
	s_cmp_eq_u64 s[12:13], 0
	v_mov_b32_e32 v1, s15
	s_cbranch_scc1 .LBB26_7
; %bb.6:
	v_mov_b32_e32 v1, 0
	global_load_ushort v1, v1, s[12:13]
.LBB26_7:
	s_mul_i32 s12, s14, s11
	s_sub_i32 s12, s29, s12
	s_add_i32 s13, s14, 1
	s_sub_i32 s15, s12, s11
	s_cmp_ge_u32 s12, s11
	s_cselect_b32 s13, s13, s14
	s_cselect_b32 s12, s15, s12
	s_add_i32 s14, s13, 1
	s_cmp_ge_u32 s12, s11
	s_cselect_b32 s12, s14, s13
	s_mul_i32 s11, s12, s11
	s_sub_i32 s11, s29, s11
	v_and_b32_e32 v2, 15, v41
	v_lshrrev_b32_e32 v4, 4, v41
	v_lshl_or_b32 v3, s11, 4, v2
	v_lshl_add_u32 v2, s12, 4, v4
	v_cmp_gt_u32_e32 vcc, s4, v3
	v_cmp_gt_u32_e64 s[4:5], s5, v2
	s_and_b64 s[4:5], vcc, s[4:5]
	s_and_saveexec_b64 s[12:13], s[4:5]
	s_cbranch_execz .LBB26_13
; %bb.8:
	s_load_dwordx4 s[12:15], s[26:27], 0x0
	s_load_dwordx2 s[4:5], s[26:27], 0x10
	s_mul_i32 s9, s9, s28
	v_mov_b32_e32 v5, 0
	v_mov_b32_e32 v4, 0
	s_waitcnt lgkmcnt(0)
	s_cmp_eq_u64 s[14:15], 0
	s_cbranch_scc1 .LBB26_10
; %bb.9:
	s_bitcmp1_b32 s10, 0
	s_cselect_b64 vcc, -1, 0
	v_cndmask_b32_e32 v4, v2, v3, vcc
	v_mul_lo_u32 v4, v4, s6
	v_cndmask_b32_e32 v6, v3, v2, vcc
	v_mov_b32_e32 v7, 0
	v_add3_u32 v6, v6, s9, v4
	v_lshlrev_b64 v[6:7], 1, v[6:7]
	v_mov_b32_e32 v4, s15
	v_add_co_u32_e32 v6, vcc, s14, v6
	v_addc_co_u32_e32 v7, vcc, v4, v7, vcc
	global_load_ushort v4, v[6:7], off
.LBB26_10:
	s_cmp_eq_u64 s[4:5], 0
	s_cbranch_scc1 .LBB26_12
; %bb.11:
	s_load_dword s6, s[26:27], 0x50
	v_mov_b32_e32 v6, 0
	v_mov_b32_e32 v7, s5
	s_waitcnt lgkmcnt(0)
	s_bitcmp1_b32 s6, 8
	s_cselect_b64 vcc, -1, 0
	v_cndmask_b32_e32 v5, v3, v2, vcc
	v_mul_lo_u32 v5, v5, s7
	v_cndmask_b32_e32 v8, v2, v3, vcc
	v_add3_u32 v5, v8, s9, v5
	v_lshlrev_b64 v[5:6], 1, v[5:6]
	v_add_co_u32_e32 v5, vcc, s4, v5
	v_addc_co_u32_e32 v6, vcc, v7, v6, vcc
	global_load_ushort v5, v[5:6], off
.LBB26_12:
	v_mul_lo_u32 v3, v3, s8
	s_waitcnt vmcnt(0)
	v_mul_f16_e32 v5, v1, v5
	v_mov_b32_e32 v1, 0
	v_fma_f16 v4, v0, v4, v5
	v_add3_u32 v0, v2, s9, v3
	v_lshlrev_b64 v[0:1], 1, v[0:1]
	v_mov_b32_e32 v2, s13
	v_add_co_u32_e32 v0, vcc, s12, v0
	v_addc_co_u32_e32 v1, vcc, v2, v1, vcc
	global_store_short v[0:1], v4, off
.LBB26_13:
	s_endpgm
	.section	.rodata,"a",@progbits
	.p2align	6, 0x0
	.amdhsa_kernel Transform_H_H_011_16_16_VW_1
		.amdhsa_group_segment_fixed_size 0
		.amdhsa_private_segment_fixed_size 64
		.amdhsa_kernarg_size 344
		.amdhsa_user_sgpr_count 8
		.amdhsa_user_sgpr_private_segment_buffer 1
		.amdhsa_user_sgpr_dispatch_ptr 0
		.amdhsa_user_sgpr_queue_ptr 0
		.amdhsa_user_sgpr_kernarg_segment_ptr 1
		.amdhsa_user_sgpr_dispatch_id 0
		.amdhsa_user_sgpr_flat_scratch_init 1
		.amdhsa_user_sgpr_private_segment_size 0
		.amdhsa_uses_dynamic_stack 0
		.amdhsa_system_sgpr_private_segment_wavefront_offset 1
		.amdhsa_system_sgpr_workgroup_id_x 1
		.amdhsa_system_sgpr_workgroup_id_y 0
		.amdhsa_system_sgpr_workgroup_id_z 1
		.amdhsa_system_sgpr_workgroup_info 0
		.amdhsa_system_vgpr_workitem_id 0
		.amdhsa_next_free_vgpr 42
		.amdhsa_next_free_sgpr 34
		.amdhsa_reserve_vcc 1
		.amdhsa_reserve_flat_scratch 1
		.amdhsa_float_round_mode_32 0
		.amdhsa_float_round_mode_16_64 0
		.amdhsa_float_denorm_mode_32 3
		.amdhsa_float_denorm_mode_16_64 3
		.amdhsa_dx10_clamp 1
		.amdhsa_ieee_mode 1
		.amdhsa_fp16_overflow 0
		.amdhsa_exception_fp_ieee_invalid_op 0
		.amdhsa_exception_fp_denorm_src 0
		.amdhsa_exception_fp_ieee_div_zero 0
		.amdhsa_exception_fp_ieee_overflow 0
		.amdhsa_exception_fp_ieee_underflow 0
		.amdhsa_exception_fp_ieee_inexact 0
		.amdhsa_exception_int_div_zero 0
	.end_amdhsa_kernel
	.text
.Lfunc_end26:
	.size	Transform_H_H_011_16_16_VW_1, .Lfunc_end26-Transform_H_H_011_16_16_VW_1
                                        ; -- End function
	.set Transform_H_H_011_16_16_VW_1.num_vgpr, max(42, .L__assert_fail.num_vgpr)
	.set Transform_H_H_011_16_16_VW_1.num_agpr, max(0, .L__assert_fail.num_agpr)
	.set Transform_H_H_011_16_16_VW_1.numbered_sgpr, max(33, .L__assert_fail.numbered_sgpr)
	.set Transform_H_H_011_16_16_VW_1.num_named_barrier, max(0, .L__assert_fail.num_named_barrier)
	.set Transform_H_H_011_16_16_VW_1.private_seg_size, 0+max(.L__assert_fail.private_seg_size)
	.set Transform_H_H_011_16_16_VW_1.uses_vcc, or(1, .L__assert_fail.uses_vcc)
	.set Transform_H_H_011_16_16_VW_1.uses_flat_scratch, or(1, .L__assert_fail.uses_flat_scratch)
	.set Transform_H_H_011_16_16_VW_1.has_dyn_sized_stack, or(0, .L__assert_fail.has_dyn_sized_stack)
	.set Transform_H_H_011_16_16_VW_1.has_recursion, or(0, .L__assert_fail.has_recursion)
	.set Transform_H_H_011_16_16_VW_1.has_indirect_call, or(0, .L__assert_fail.has_indirect_call)
	.section	.AMDGPU.csdata,"",@progbits
; Kernel info:
; codeLenInByte = 664
; TotalNumSgprs: 40
; NumVgprs: 42
; ScratchSize: 64
; MemoryBound: 0
; FloatMode: 240
; IeeeMode: 1
; LDSByteSize: 0 bytes/workgroup (compile time only)
; SGPRBlocks: 4
; VGPRBlocks: 10
; NumSGPRsForWavesPerEU: 40
; NumVGPRsForWavesPerEU: 42
; Occupancy: 5
; WaveLimiterHint : 1
; COMPUTE_PGM_RSRC2:SCRATCH_EN: 1
; COMPUTE_PGM_RSRC2:USER_SGPR: 8
; COMPUTE_PGM_RSRC2:TRAP_HANDLER: 0
; COMPUTE_PGM_RSRC2:TGID_X_EN: 1
; COMPUTE_PGM_RSRC2:TGID_Y_EN: 0
; COMPUTE_PGM_RSRC2:TGID_Z_EN: 1
; COMPUTE_PGM_RSRC2:TIDIG_COMP_CNT: 0
	.text
	.protected	Transform_H_H_011_16_16_VW_4 ; -- Begin function Transform_H_H_011_16_16_VW_4
	.globl	Transform_H_H_011_16_16_VW_4
	.p2align	8
	.type	Transform_H_H_011_16_16_VW_4,@function
Transform_H_H_011_16_16_VW_4:           ; @Transform_H_H_011_16_16_VW_4
; %bb.0:
	s_mov_b64 s[26:27], s[4:5]
	s_load_dword s4, s[4:5], 0x64
	s_add_u32 flat_scratch_lo, s6, s10
	s_addc_u32 flat_scratch_hi, s7, 0
	s_add_u32 s0, s0, s10
	s_addc_u32 s1, s1, 0
	s_waitcnt lgkmcnt(0)
	s_and_b32 s4, s4, 0xffff
	s_mov_b32 s29, s9
	s_mov_b32 s28, s8
	v_mov_b32_e32 v41, v0
	s_cmpk_eq_i32 s4, 0x100
	s_mov_b64 s[4:5], -1
	s_mov_b32 s32, 0
	s_cbranch_scc1 .LBB27_2
; %bb.1:
	s_add_u32 s8, s26, 0x58
	s_addc_u32 s9, s27, 0
	s_getpc_b64 s[4:5]
	s_add_u32 s4, s4, __PRETTY_FUNCTION__._ZN10amd_detail9transformIDF16_DF16_Lb0ELb1ELb1ELj16ELj16ELj4EEEvPT_PKS1_S4_T0_PKS5_S5_S7_jjjjjjbb@rel32@lo+4
	s_addc_u32 s5, s5, __PRETTY_FUNCTION__._ZN10amd_detail9transformIDF16_DF16_Lb0ELb1ELb1ELj16ELj16ELj4EEEvPT_PKS1_S4_T0_PKS5_S5_S7_jjjjjjbb@rel32@hi+12
	s_getpc_b64 s[6:7]
	s_add_u32 s6, s6, __assert_fail@rel32@lo+4
	s_addc_u32 s7, s7, __assert_fail@rel32@hi+12
	v_mov_b32_e32 v0, s4
	v_mov_b32_e32 v1, s5
	s_swappc_b64 s[30:31], s[6:7]
	s_mov_b64 s[4:5], 0
	; divergent unreachable
.LBB27_2:
	s_andn2_b64 vcc, exec, s[4:5]
	s_cbranch_vccnz .LBB27_54
; %bb.3:
	s_load_dwordx4 s[12:15], s[26:27], 0x38
	s_waitcnt lgkmcnt(0)
	s_lshr_b32 s6, s12, 4
	s_and_b32 s4, s12, 15
	s_cmp_lg_u32 s4, 0
	s_cselect_b64 s[4:5], -1, 0
	s_cmp_lg_u64 s[4:5], 0
	s_addc_u32 s6, s6, 0
	v_cvt_f32_u32_e32 v0, s6
	s_load_dword s8, s[26:27], 0x18
	s_load_dwordx2 s[4:5], s[26:27], 0x20
	s_sub_i32 s7, 0, s6
	v_rcp_iflag_f32_e32 v0, v0
	s_waitcnt lgkmcnt(0)
	v_mov_b32_e32 v11, s8
	v_mul_f32_e32 v0, 0x4f7ffffe, v0
	v_cvt_u32_f32_e32 v0, v0
	v_readfirstlane_b32 s9, v0
	s_mul_i32 s7, s7, s9
	s_mul_hi_u32 s7, s9, s7
	s_add_i32 s9, s9, s7
	s_mul_hi_u32 s7, s28, s9
	s_cmp_eq_u64 s[4:5], 0
	s_cbranch_scc1 .LBB27_5
; %bb.4:
	v_mov_b32_e32 v0, 0
	global_load_ushort v11, v0, s[4:5]
.LBB27_5:
	s_load_dwordx2 s[4:5], s[26:27], 0x30
	s_load_dword s8, s[26:27], 0x28
	s_waitcnt lgkmcnt(0)
	s_cmp_eq_u64 s[4:5], 0
	v_mov_b32_e32 v13, s8
	s_cbranch_scc1 .LBB27_7
; %bb.6:
	v_mov_b32_e32 v0, 0
	global_load_ushort v13, v0, s[4:5]
.LBB27_7:
	s_mul_i32 s4, s7, s6
	s_sub_i32 s4, s28, s4
	s_add_i32 s5, s7, 1
	s_sub_i32 s8, s4, s6
	s_cmp_ge_u32 s4, s6
	s_cselect_b32 s5, s5, s7
	s_cselect_b32 s4, s8, s4
	s_add_i32 s7, s5, 1
	s_cmp_ge_u32 s4, s6
	s_cselect_b32 s4, s7, s5
	s_mul_i32 s30, s4, s6
	s_sub_i32 s5, s28, s30
	v_and_b32_e32 v9, 15, v41
	v_lshl_or_b32 v1, s5, 4, v9
	v_cmp_gt_u32_e32 vcc, s12, v1
	s_and_saveexec_b64 s[6:7], vcc
	s_cbranch_execz .LBB27_54
; %bb.8:
	v_lshrrev_b32_e32 v0, 2, v41
	s_lshl_b32 s12, s4, 6
	v_and_b32_e32 v10, 0xfc, v0
	s_load_dwordx4 s[20:23], s[26:27], 0x48
	v_add_u32_e32 v8, s12, v10
	v_add_u32_e32 v12, 4, v8
	v_sub_u32_e64 v0, v12, s13 clamp
	s_load_dwordx4 s[16:19], s[26:27], 0x0
	s_load_dwordx2 s[24:25], s[26:27], 0x10
	v_sub_u32_e32 v4, v8, v0
	v_mad_u64_u32 v[2:3], s[4:5], v1, s14, v[4:5]
	s_waitcnt lgkmcnt(0)
	s_bitcmp1_b32 s22, 0
	s_cselect_b64 vcc, -1, 0
	s_cmp_lg_u64 s[18:19], 0
	s_mul_i32 s21, s21, s29
	s_cselect_b64 s[10:11], -1, 0
	s_cmp_eq_u64 s[18:19], 0
	v_mov_b32_e32 v14, 0
	v_mov_b32_e32 v15, 0
	s_cbranch_scc1 .LBB27_10
; %bb.9:
	v_mad_u64_u32 v[5:6], s[4:5], v4, s14, v[1:2]
	v_mov_b32_e32 v6, 0
	v_mov_b32_e32 v3, s19
	v_cndmask_b32_e32 v5, v5, v2, vcc
	v_add_u32_e32 v5, s21, v5
	v_lshlrev_b64 v[5:6], 1, v[5:6]
	v_add_co_u32_e64 v5, s[4:5], s18, v5
	v_addc_co_u32_e64 v6, s[4:5], v3, v6, s[4:5]
	global_load_ushort v15, v[5:6], off
.LBB27_10:
	s_load_dword s6, s[26:27], 0x50
	s_xor_b64 s[8:9], vcc, -1
	v_mad_u64_u32 v[5:6], s[4:5], v1, s15, v[4:5]
	v_mul_lo_u32 v16, v4, s15
	s_waitcnt lgkmcnt(0)
	s_bitcmp1_b32 s6, 8
	s_cselect_b64 s[6:7], -1, 0
	s_cmp_lg_u64 s[24:25], 0
	s_cselect_b64 s[22:23], -1, 0
	s_cmp_eq_u64 s[24:25], 0
	s_cbranch_scc1 .LBB27_12
; %bb.11:
	v_add_u32_e32 v3, v16, v1
	v_cndmask_b32_e64 v3, v5, v3, s[6:7]
	v_add_u32_e32 v6, s21, v3
	v_mov_b32_e32 v7, 0
	v_lshlrev_b64 v[6:7], 1, v[6:7]
	v_mov_b32_e32 v3, s25
	v_add_co_u32_e32 v6, vcc, s24, v6
	v_addc_co_u32_e32 v7, vcc, v3, v7, vcc
	global_load_ushort v14, v[6:7], off
.LBB27_12:
	v_cndmask_b32_e64 v3, 0, 1, s[8:9]
	v_cmp_ne_u32_e64 s[4:5], 1, v3
	s_andn2_b64 vcc, exec, s[8:9]
	s_cbranch_vccnz .LBB27_14
; %bb.13:
	v_mul_lo_u32 v3, s14, v4
	v_add3_u32 v3, v3, s14, v1
	s_xor_b64 s[8:9], s[6:7], -1
	s_cbranch_execz .LBB27_15
	s_branch .LBB27_16
.LBB27_14:
                                        ; implicit-def: $vgpr3
	s_xor_b64 s[8:9], s[6:7], -1
.LBB27_15:
	v_add_u32_e32 v3, 1, v2
.LBB27_16:
	v_cndmask_b32_e64 v6, 0, 1, s[8:9]
	v_cmp_ne_u32_e64 s[6:7], 1, v6
	s_andn2_b64 vcc, exec, s[8:9]
	s_cbranch_vccnz .LBB27_18
; %bb.17:
	v_add_u32_e32 v6, 1, v5
	s_cbranch_execz .LBB27_19
	s_branch .LBB27_20
.LBB27_18:
                                        ; implicit-def: $vgpr6
.LBB27_19:
	v_add3_u32 v6, v16, s15, v1
.LBB27_20:
	v_cndmask_b32_e64 v7, 0, 1, s[10:11]
	v_mov_b32_e32 v17, 0
	v_cmp_ne_u32_e64 s[8:9], 1, v7
	s_andn2_b64 vcc, exec, s[10:11]
	v_mov_b32_e32 v18, 0
	s_cbranch_vccnz .LBB27_22
; %bb.21:
	v_add_u32_e32 v18, s21, v3
	v_mov_b32_e32 v19, 0
	v_lshlrev_b64 v[18:19], 1, v[18:19]
	v_mov_b32_e32 v3, s19
	v_add_co_u32_e32 v18, vcc, s18, v18
	v_addc_co_u32_e32 v19, vcc, v3, v19, vcc
	global_load_ushort v18, v[18:19], off
.LBB27_22:
	v_cndmask_b32_e64 v3, 0, 1, s[22:23]
	v_cmp_ne_u32_e64 s[10:11], 1, v3
	s_andn2_b64 vcc, exec, s[22:23]
	s_cbranch_vccnz .LBB27_24
; %bb.23:
	v_add_u32_e32 v6, s21, v6
	v_mov_b32_e32 v7, 0
	v_lshlrev_b64 v[6:7], 1, v[6:7]
	v_mov_b32_e32 v3, s25
	v_add_co_u32_e32 v6, vcc, s24, v6
	v_addc_co_u32_e32 v7, vcc, v3, v7, vcc
	global_load_ushort v17, v[6:7], off
.LBB27_24:
	s_and_b64 vcc, exec, s[4:5]
	s_cbranch_vccnz .LBB27_26
; %bb.25:
	v_add_u32_e32 v3, 2, v4
	v_mad_u64_u32 v[6:7], s[22:23], v3, s14, v[1:2]
	s_cbranch_execz .LBB27_27
	s_branch .LBB27_28
.LBB27_26:
                                        ; implicit-def: $vgpr6
.LBB27_27:
	v_add_u32_e32 v6, 2, v2
.LBB27_28:
	s_and_b64 vcc, exec, s[6:7]
	s_cbranch_vccnz .LBB27_30
; %bb.29:
	v_add_u32_e32 v3, 2, v5
	s_cbranch_execz .LBB27_31
	s_branch .LBB27_32
.LBB27_30:
                                        ; implicit-def: $vgpr3
.LBB27_31:
	s_lshl_b32 s22, s15, 1
	v_add3_u32 v3, v16, s22, v1
.LBB27_32:
	v_mov_b32_e32 v7, 0
	s_and_b64 vcc, exec, s[8:9]
	v_mov_b32_e32 v19, 0
	s_cbranch_vccnz .LBB27_34
; %bb.33:
	v_add_u32_e32 v19, s21, v6
	v_mov_b32_e32 v20, 0
	v_lshlrev_b64 v[19:20], 1, v[19:20]
	v_mov_b32_e32 v6, s19
	v_add_co_u32_e32 v19, vcc, s18, v19
	v_addc_co_u32_e32 v20, vcc, v6, v20, vcc
	global_load_ushort v19, v[19:20], off
.LBB27_34:
	s_and_b64 vcc, exec, s[10:11]
	s_cbranch_vccnz .LBB27_36
; %bb.35:
	v_add_u32_e32 v6, s21, v3
	v_mov_b32_e32 v7, 0
	v_lshlrev_b64 v[6:7], 1, v[6:7]
	v_mov_b32_e32 v3, s25
	v_add_co_u32_e32 v6, vcc, s24, v6
	v_addc_co_u32_e32 v7, vcc, v3, v7, vcc
	global_load_ushort v7, v[6:7], off
.LBB27_36:
	s_and_b64 vcc, exec, s[4:5]
	s_cbranch_vccnz .LBB27_38
; %bb.37:
	v_add_u32_e32 v3, 3, v4
	v_mad_u64_u32 v[3:4], s[4:5], v3, s14, v[1:2]
	s_cbranch_execz .LBB27_39
	s_branch .LBB27_40
.LBB27_38:
                                        ; implicit-def: $vgpr3
.LBB27_39:
	v_add_u32_e32 v3, 3, v2
.LBB27_40:
	s_and_b64 vcc, exec, s[6:7]
	s_cbranch_vccnz .LBB27_42
; %bb.41:
	v_add_u32_e32 v2, 3, v5
	s_cbranch_execz .LBB27_43
	s_branch .LBB27_44
.LBB27_42:
                                        ; implicit-def: $vgpr2
.LBB27_43:
	s_mul_i32 s4, s15, 3
	v_add3_u32 v2, v16, s4, v1
.LBB27_44:
	v_mov_b32_e32 v4, 0
	s_and_b64 vcc, exec, s[8:9]
	v_mov_b32_e32 v5, 0
	s_cbranch_vccnz .LBB27_46
; %bb.45:
	v_add_u32_e32 v5, s21, v3
	v_mov_b32_e32 v6, 0
	v_lshlrev_b64 v[5:6], 1, v[5:6]
	v_mov_b32_e32 v3, s19
	v_add_co_u32_e32 v5, vcc, s18, v5
	v_addc_co_u32_e32 v6, vcc, v3, v6, vcc
	global_load_ushort v5, v[5:6], off
.LBB27_46:
	s_and_b64 vcc, exec, s[10:11]
	s_cbranch_vccnz .LBB27_48
; %bb.47:
	v_add_u32_e32 v2, s21, v2
	v_mov_b32_e32 v3, 0
	v_lshlrev_b64 v[2:3], 1, v[2:3]
	v_mov_b32_e32 v4, s25
	v_add_co_u32_e32 v2, vcc, s24, v2
	v_addc_co_u32_e32 v3, vcc, v4, v3, vcc
	global_load_ushort v4, v[2:3], off
.LBB27_48:
	s_mov_b32 s4, 0x5040100
	s_waitcnt vmcnt(0)
	v_perm_b32 v3, v17, v14, s4
	v_perm_b32 v2, v18, v15, s4
	v_pk_mul_f16 v3, v13, v3 op_sel_hi:[0,1]
	v_perm_b32 v4, v4, v7, s4
	v_pk_fma_f16 v2, v11, v2, v3 op_sel_hi:[0,1,1]
	v_perm_b32 v3, v5, v19, s4
	v_pk_mul_f16 v4, v13, v4 op_sel_hi:[0,1]
	v_pk_fma_f16 v3, v11, v3, v4 op_sel_hi:[0,1,1]
	v_cmp_ge_u32_e32 vcc, s13, v12
	s_and_saveexec_b64 s[4:5], vcc
	s_xor_b64 s[4:5], exec, s[4:5]
	s_cbranch_execz .LBB27_50
; %bb.49:
	v_mul_lo_u32 v4, v1, s20
	v_mov_b32_e32 v1, 0
	v_mov_b32_e32 v6, s17
                                        ; implicit-def: $vgpr12
                                        ; implicit-def: $vgpr9
                                        ; implicit-def: $vgpr10
	v_add3_u32 v4, v8, s21, v4
	v_sub_u32_e32 v0, v4, v0
	v_lshlrev_b64 v[4:5], 1, v[0:1]
                                        ; implicit-def: $vgpr8
	v_add_co_u32_e32 v4, vcc, s16, v4
	v_addc_co_u32_e32 v5, vcc, v6, v5, vcc
	global_store_short v[4:5], v2, off
	v_add_u32_e32 v4, 1, v0
	v_mov_b32_e32 v5, v1
	v_lshlrev_b64 v[4:5], 1, v[4:5]
	v_add_co_u32_e32 v4, vcc, s16, v4
	v_addc_co_u32_e32 v5, vcc, v6, v5, vcc
	global_store_short_d16_hi v[4:5], v2, off
	v_add_u32_e32 v4, 2, v0
	v_mov_b32_e32 v5, v1
	v_lshlrev_b64 v[4:5], 1, v[4:5]
	v_add_u32_e32 v0, 3, v0
	v_mov_b32_e32 v2, s17
	v_add_co_u32_e32 v4, vcc, s16, v4
	v_lshlrev_b64 v[0:1], 1, v[0:1]
	v_addc_co_u32_e32 v5, vcc, v2, v5, vcc
	v_add_co_u32_e32 v0, vcc, s16, v0
	v_addc_co_u32_e32 v1, vcc, v2, v1, vcc
	global_store_short v[4:5], v3, off
	global_store_short_d16_hi v[0:1], v3, off
                                        ; implicit-def: $vgpr0
                                        ; implicit-def: $vgpr2
.LBB27_50:
	s_andn2_saveexec_b64 s[4:5], s[4:5]
	s_cbranch_execz .LBB27_54
; %bb.51:
	v_cmp_gt_u32_e32 vcc, 4, v0
	s_and_b64 exec, exec, vcc
	s_cbranch_execz .LBB27_54
; %bb.52:
	v_lshl_or_b32 v4, s28, 4, v9
	s_lshl_b32 s4, s30, 4
	v_subrev_u32_e32 v4, s4, v4
	v_mul_lo_u32 v4, s20, v4
	v_min_u32_e32 v1, s13, v12
	v_sub_u32_e32 v1, v8, v1
	v_add_u32_e32 v6, 3, v1
	s_add_i32 s12, s12, s21
	v_mov_b32_e32 v1, 0
	v_add3_u32 v8, s12, v4, v10
	v_mov_b32_e32 v5, v1
	s_mov_b64 s[6:7], 0
	v_mov_b32_e32 v7, s17
	v_mov_b32_e32 v4, v0
	;; [unrolled: 1-line block ×3, first 2 shown]
.LBB27_53:                              ; =>This Inner Loop Header: Depth=1
	v_lshlrev_b32_e32 v10, 4, v4
	v_lshlrev_b64 v[8:9], 1, v[0:1]
	v_add_co_u32_e32 v4, vcc, 1, v4
	v_add_u32_e32 v6, 1, v6
	v_addc_co_u32_e32 v5, vcc, 0, v5, vcc
	v_lshrrev_b64 v[10:11], v10, v[2:3]
	v_cmp_lt_u32_e32 vcc, 2, v6
	v_add_co_u32_e64 v8, s[4:5], s16, v8
	v_add_u32_e32 v0, 1, v0
	v_addc_co_u32_e64 v9, s[4:5], v7, v9, s[4:5]
	s_or_b64 s[6:7], vcc, s[6:7]
	global_store_short v[8:9], v10, off
	s_andn2_b64 exec, exec, s[6:7]
	s_cbranch_execnz .LBB27_53
.LBB27_54:
	s_endpgm
	.section	.rodata,"a",@progbits
	.p2align	6, 0x0
	.amdhsa_kernel Transform_H_H_011_16_16_VW_4
		.amdhsa_group_segment_fixed_size 0
		.amdhsa_private_segment_fixed_size 64
		.amdhsa_kernarg_size 344
		.amdhsa_user_sgpr_count 8
		.amdhsa_user_sgpr_private_segment_buffer 1
		.amdhsa_user_sgpr_dispatch_ptr 0
		.amdhsa_user_sgpr_queue_ptr 0
		.amdhsa_user_sgpr_kernarg_segment_ptr 1
		.amdhsa_user_sgpr_dispatch_id 0
		.amdhsa_user_sgpr_flat_scratch_init 1
		.amdhsa_user_sgpr_private_segment_size 0
		.amdhsa_uses_dynamic_stack 0
		.amdhsa_system_sgpr_private_segment_wavefront_offset 1
		.amdhsa_system_sgpr_workgroup_id_x 1
		.amdhsa_system_sgpr_workgroup_id_y 0
		.amdhsa_system_sgpr_workgroup_id_z 1
		.amdhsa_system_sgpr_workgroup_info 0
		.amdhsa_system_vgpr_workitem_id 0
		.amdhsa_next_free_vgpr 42
		.amdhsa_next_free_sgpr 34
		.amdhsa_reserve_vcc 1
		.amdhsa_reserve_flat_scratch 1
		.amdhsa_float_round_mode_32 0
		.amdhsa_float_round_mode_16_64 0
		.amdhsa_float_denorm_mode_32 3
		.amdhsa_float_denorm_mode_16_64 3
		.amdhsa_dx10_clamp 1
		.amdhsa_ieee_mode 1
		.amdhsa_fp16_overflow 0
		.amdhsa_exception_fp_ieee_invalid_op 0
		.amdhsa_exception_fp_denorm_src 0
		.amdhsa_exception_fp_ieee_div_zero 0
		.amdhsa_exception_fp_ieee_overflow 0
		.amdhsa_exception_fp_ieee_underflow 0
		.amdhsa_exception_fp_ieee_inexact 0
		.amdhsa_exception_int_div_zero 0
	.end_amdhsa_kernel
	.text
.Lfunc_end27:
	.size	Transform_H_H_011_16_16_VW_4, .Lfunc_end27-Transform_H_H_011_16_16_VW_4
                                        ; -- End function
	.set Transform_H_H_011_16_16_VW_4.num_vgpr, max(42, .L__assert_fail.num_vgpr)
	.set Transform_H_H_011_16_16_VW_4.num_agpr, max(0, .L__assert_fail.num_agpr)
	.set Transform_H_H_011_16_16_VW_4.numbered_sgpr, max(33, .L__assert_fail.numbered_sgpr)
	.set Transform_H_H_011_16_16_VW_4.num_named_barrier, max(0, .L__assert_fail.num_named_barrier)
	.set Transform_H_H_011_16_16_VW_4.private_seg_size, 0+max(.L__assert_fail.private_seg_size)
	.set Transform_H_H_011_16_16_VW_4.uses_vcc, or(1, .L__assert_fail.uses_vcc)
	.set Transform_H_H_011_16_16_VW_4.uses_flat_scratch, or(1, .L__assert_fail.uses_flat_scratch)
	.set Transform_H_H_011_16_16_VW_4.has_dyn_sized_stack, or(0, .L__assert_fail.has_dyn_sized_stack)
	.set Transform_H_H_011_16_16_VW_4.has_recursion, or(0, .L__assert_fail.has_recursion)
	.set Transform_H_H_011_16_16_VW_4.has_indirect_call, or(0, .L__assert_fail.has_indirect_call)
	.section	.AMDGPU.csdata,"",@progbits
; Kernel info:
; codeLenInByte = 1616
; TotalNumSgprs: 40
; NumVgprs: 42
; ScratchSize: 64
; MemoryBound: 0
; FloatMode: 240
; IeeeMode: 1
; LDSByteSize: 0 bytes/workgroup (compile time only)
; SGPRBlocks: 4
; VGPRBlocks: 10
; NumSGPRsForWavesPerEU: 40
; NumVGPRsForWavesPerEU: 42
; Occupancy: 5
; WaveLimiterHint : 1
; COMPUTE_PGM_RSRC2:SCRATCH_EN: 1
; COMPUTE_PGM_RSRC2:USER_SGPR: 8
; COMPUTE_PGM_RSRC2:TRAP_HANDLER: 0
; COMPUTE_PGM_RSRC2:TGID_X_EN: 1
; COMPUTE_PGM_RSRC2:TGID_Y_EN: 0
; COMPUTE_PGM_RSRC2:TGID_Z_EN: 1
; COMPUTE_PGM_RSRC2:TIDIG_COMP_CNT: 0
	.text
	.protected	Transform_H_H_010_16_16_VW_1 ; -- Begin function Transform_H_H_010_16_16_VW_1
	.globl	Transform_H_H_010_16_16_VW_1
	.p2align	8
	.type	Transform_H_H_010_16_16_VW_1,@function
Transform_H_H_010_16_16_VW_1:           ; @Transform_H_H_010_16_16_VW_1
; %bb.0:
	s_mov_b64 s[26:27], s[4:5]
	s_load_dword s4, s[4:5], 0x64
	s_add_u32 flat_scratch_lo, s6, s10
	s_addc_u32 flat_scratch_hi, s7, 0
	s_add_u32 s0, s0, s10
	s_addc_u32 s1, s1, 0
	s_waitcnt lgkmcnt(0)
	s_and_b32 s4, s4, 0xffff
	s_mov_b32 s28, s9
	s_mov_b32 s29, s8
	v_mov_b32_e32 v41, v0
	s_cmpk_eq_i32 s4, 0x100
	s_mov_b64 s[4:5], -1
	s_mov_b32 s32, 0
	s_cbranch_scc1 .LBB28_2
; %bb.1:
	s_add_u32 s8, s26, 0x58
	s_addc_u32 s9, s27, 0
	s_getpc_b64 s[4:5]
	s_add_u32 s4, s4, __PRETTY_FUNCTION__._ZN10amd_detail9transformIDF16_DF16_Lb0ELb1ELb0ELj16ELj16ELj1EEEvPT_PKS1_S4_T0_PKS5_S5_S7_jjjjjjbb@rel32@lo+4
	s_addc_u32 s5, s5, __PRETTY_FUNCTION__._ZN10amd_detail9transformIDF16_DF16_Lb0ELb1ELb0ELj16ELj16ELj1EEEvPT_PKS1_S4_T0_PKS5_S5_S7_jjjjjjbb@rel32@hi+12
	s_getpc_b64 s[6:7]
	s_add_u32 s6, s6, __assert_fail@rel32@lo+4
	s_addc_u32 s7, s7, __assert_fail@rel32@hi+12
	v_mov_b32_e32 v0, s4
	v_mov_b32_e32 v1, s5
	s_swappc_b64 s[30:31], s[6:7]
	s_mov_b64 s[4:5], 0
	; divergent unreachable
.LBB28_2:
	s_andn2_b64 vcc, exec, s[4:5]
	s_cbranch_vccnz .LBB28_13
; %bb.3:
	s_load_dwordx8 s[4:11], s[26:27], 0x38
	s_waitcnt lgkmcnt(0)
	s_lshr_b32 s11, s4, 4
	s_and_b32 s12, s4, 15
	s_cmp_lg_u32 s12, 0
	s_cselect_b64 s[12:13], -1, 0
	s_cmp_lg_u64 s[12:13], 0
	s_addc_u32 s11, s11, 0
	v_cvt_f32_u32_e32 v0, s11
	s_load_dword s15, s[26:27], 0x18
	s_load_dwordx2 s[12:13], s[26:27], 0x20
	s_sub_i32 s14, 0, s11
	v_rcp_iflag_f32_e32 v0, v0
	v_mul_f32_e32 v0, 0x4f7ffffe, v0
	v_cvt_u32_f32_e32 v0, v0
	v_readfirstlane_b32 s16, v0
	s_mul_i32 s14, s14, s16
	s_mul_hi_u32 s14, s16, s14
	s_add_i32 s16, s16, s14
	s_mul_hi_u32 s14, s29, s16
	s_waitcnt lgkmcnt(0)
	s_cmp_eq_u64 s[12:13], 0
	v_mov_b32_e32 v0, s15
	s_cbranch_scc1 .LBB28_5
; %bb.4:
	v_mov_b32_e32 v0, 0
	global_load_ushort v0, v0, s[12:13]
.LBB28_5:
	s_load_dwordx2 s[12:13], s[26:27], 0x30
	s_load_dword s15, s[26:27], 0x28
	s_waitcnt lgkmcnt(0)
	s_cmp_eq_u64 s[12:13], 0
	v_mov_b32_e32 v1, s15
	s_cbranch_scc1 .LBB28_7
; %bb.6:
	v_mov_b32_e32 v1, 0
	global_load_ushort v1, v1, s[12:13]
.LBB28_7:
	s_mul_i32 s12, s14, s11
	s_sub_i32 s12, s29, s12
	s_add_i32 s13, s14, 1
	s_sub_i32 s15, s12, s11
	s_cmp_ge_u32 s12, s11
	s_cselect_b32 s13, s13, s14
	s_cselect_b32 s12, s15, s12
	s_add_i32 s14, s13, 1
	s_cmp_ge_u32 s12, s11
	s_cselect_b32 s12, s14, s13
	s_mul_i32 s11, s12, s11
	s_sub_i32 s11, s29, s11
	v_and_b32_e32 v2, 15, v41
	v_lshrrev_b32_e32 v3, 4, v41
	v_lshl_or_b32 v2, s11, 4, v2
	v_lshl_add_u32 v3, s12, 4, v3
	v_cmp_gt_u32_e32 vcc, s4, v2
	v_cmp_gt_u32_e64 s[4:5], s5, v3
	s_and_b64 s[4:5], vcc, s[4:5]
	s_and_saveexec_b64 s[12:13], s[4:5]
	s_cbranch_execz .LBB28_13
; %bb.8:
	s_load_dwordx4 s[12:15], s[26:27], 0x0
	s_load_dwordx2 s[4:5], s[26:27], 0x10
	s_mul_i32 s9, s9, s28
	v_mov_b32_e32 v5, 0
	v_mov_b32_e32 v4, 0
	s_waitcnt lgkmcnt(0)
	s_cmp_eq_u64 s[14:15], 0
	s_cbranch_scc1 .LBB28_10
; %bb.9:
	s_bitcmp1_b32 s10, 0
	s_cselect_b64 vcc, -1, 0
	v_cndmask_b32_e32 v4, v3, v2, vcc
	v_mul_lo_u32 v4, v4, s6
	v_cndmask_b32_e32 v6, v2, v3, vcc
	v_mov_b32_e32 v7, 0
	v_add3_u32 v6, v6, s9, v4
	v_lshlrev_b64 v[6:7], 1, v[6:7]
	v_mov_b32_e32 v4, s15
	v_add_co_u32_e32 v6, vcc, s14, v6
	v_addc_co_u32_e32 v7, vcc, v4, v7, vcc
	global_load_ushort v4, v[6:7], off
.LBB28_10:
	s_cmp_eq_u64 s[4:5], 0
	s_cbranch_scc1 .LBB28_12
; %bb.11:
	s_load_dword s6, s[26:27], 0x50
	v_mov_b32_e32 v6, 0
	v_mov_b32_e32 v7, s5
	s_waitcnt lgkmcnt(0)
	s_bitcmp1_b32 s6, 8
	s_cselect_b64 vcc, -1, 0
	v_cndmask_b32_e32 v5, v2, v3, vcc
	v_mul_lo_u32 v5, v5, s7
	v_cndmask_b32_e32 v8, v3, v2, vcc
	v_add3_u32 v5, v8, s9, v5
	v_lshlrev_b64 v[5:6], 1, v[5:6]
	v_add_co_u32_e32 v5, vcc, s4, v5
	v_addc_co_u32_e32 v6, vcc, v7, v6, vcc
	global_load_ushort v5, v[5:6], off
.LBB28_12:
	v_mul_lo_u32 v3, v3, s8
	s_waitcnt vmcnt(0)
	v_mul_f16_e32 v5, v1, v5
	v_mov_b32_e32 v1, 0
	v_fma_f16 v4, v0, v4, v5
	v_add3_u32 v0, v2, s9, v3
	v_lshlrev_b64 v[0:1], 1, v[0:1]
	v_mov_b32_e32 v2, s13
	v_add_co_u32_e32 v0, vcc, s12, v0
	v_addc_co_u32_e32 v1, vcc, v2, v1, vcc
	global_store_short v[0:1], v4, off
.LBB28_13:
	s_endpgm
	.section	.rodata,"a",@progbits
	.p2align	6, 0x0
	.amdhsa_kernel Transform_H_H_010_16_16_VW_1
		.amdhsa_group_segment_fixed_size 0
		.amdhsa_private_segment_fixed_size 64
		.amdhsa_kernarg_size 344
		.amdhsa_user_sgpr_count 8
		.amdhsa_user_sgpr_private_segment_buffer 1
		.amdhsa_user_sgpr_dispatch_ptr 0
		.amdhsa_user_sgpr_queue_ptr 0
		.amdhsa_user_sgpr_kernarg_segment_ptr 1
		.amdhsa_user_sgpr_dispatch_id 0
		.amdhsa_user_sgpr_flat_scratch_init 1
		.amdhsa_user_sgpr_private_segment_size 0
		.amdhsa_uses_dynamic_stack 0
		.amdhsa_system_sgpr_private_segment_wavefront_offset 1
		.amdhsa_system_sgpr_workgroup_id_x 1
		.amdhsa_system_sgpr_workgroup_id_y 0
		.amdhsa_system_sgpr_workgroup_id_z 1
		.amdhsa_system_sgpr_workgroup_info 0
		.amdhsa_system_vgpr_workitem_id 0
		.amdhsa_next_free_vgpr 42
		.amdhsa_next_free_sgpr 34
		.amdhsa_reserve_vcc 1
		.amdhsa_reserve_flat_scratch 1
		.amdhsa_float_round_mode_32 0
		.amdhsa_float_round_mode_16_64 0
		.amdhsa_float_denorm_mode_32 3
		.amdhsa_float_denorm_mode_16_64 3
		.amdhsa_dx10_clamp 1
		.amdhsa_ieee_mode 1
		.amdhsa_fp16_overflow 0
		.amdhsa_exception_fp_ieee_invalid_op 0
		.amdhsa_exception_fp_denorm_src 0
		.amdhsa_exception_fp_ieee_div_zero 0
		.amdhsa_exception_fp_ieee_overflow 0
		.amdhsa_exception_fp_ieee_underflow 0
		.amdhsa_exception_fp_ieee_inexact 0
		.amdhsa_exception_int_div_zero 0
	.end_amdhsa_kernel
	.text
.Lfunc_end28:
	.size	Transform_H_H_010_16_16_VW_1, .Lfunc_end28-Transform_H_H_010_16_16_VW_1
                                        ; -- End function
	.set Transform_H_H_010_16_16_VW_1.num_vgpr, max(42, .L__assert_fail.num_vgpr)
	.set Transform_H_H_010_16_16_VW_1.num_agpr, max(0, .L__assert_fail.num_agpr)
	.set Transform_H_H_010_16_16_VW_1.numbered_sgpr, max(33, .L__assert_fail.numbered_sgpr)
	.set Transform_H_H_010_16_16_VW_1.num_named_barrier, max(0, .L__assert_fail.num_named_barrier)
	.set Transform_H_H_010_16_16_VW_1.private_seg_size, 0+max(.L__assert_fail.private_seg_size)
	.set Transform_H_H_010_16_16_VW_1.uses_vcc, or(1, .L__assert_fail.uses_vcc)
	.set Transform_H_H_010_16_16_VW_1.uses_flat_scratch, or(1, .L__assert_fail.uses_flat_scratch)
	.set Transform_H_H_010_16_16_VW_1.has_dyn_sized_stack, or(0, .L__assert_fail.has_dyn_sized_stack)
	.set Transform_H_H_010_16_16_VW_1.has_recursion, or(0, .L__assert_fail.has_recursion)
	.set Transform_H_H_010_16_16_VW_1.has_indirect_call, or(0, .L__assert_fail.has_indirect_call)
	.section	.AMDGPU.csdata,"",@progbits
; Kernel info:
; codeLenInByte = 664
; TotalNumSgprs: 40
; NumVgprs: 42
; ScratchSize: 64
; MemoryBound: 0
; FloatMode: 240
; IeeeMode: 1
; LDSByteSize: 0 bytes/workgroup (compile time only)
; SGPRBlocks: 4
; VGPRBlocks: 10
; NumSGPRsForWavesPerEU: 40
; NumVGPRsForWavesPerEU: 42
; Occupancy: 5
; WaveLimiterHint : 1
; COMPUTE_PGM_RSRC2:SCRATCH_EN: 1
; COMPUTE_PGM_RSRC2:USER_SGPR: 8
; COMPUTE_PGM_RSRC2:TRAP_HANDLER: 0
; COMPUTE_PGM_RSRC2:TGID_X_EN: 1
; COMPUTE_PGM_RSRC2:TGID_Y_EN: 0
; COMPUTE_PGM_RSRC2:TGID_Z_EN: 1
; COMPUTE_PGM_RSRC2:TIDIG_COMP_CNT: 0
	.text
	.protected	Transform_H_H_010_16_16_VW_4 ; -- Begin function Transform_H_H_010_16_16_VW_4
	.globl	Transform_H_H_010_16_16_VW_4
	.p2align	8
	.type	Transform_H_H_010_16_16_VW_4,@function
Transform_H_H_010_16_16_VW_4:           ; @Transform_H_H_010_16_16_VW_4
; %bb.0:
	s_mov_b64 s[26:27], s[4:5]
	s_load_dword s4, s[4:5], 0x64
	s_add_u32 flat_scratch_lo, s6, s10
	s_addc_u32 flat_scratch_hi, s7, 0
	s_add_u32 s0, s0, s10
	s_addc_u32 s1, s1, 0
	s_waitcnt lgkmcnt(0)
	s_and_b32 s4, s4, 0xffff
	s_mov_b32 s29, s9
	s_mov_b32 s28, s8
	v_mov_b32_e32 v41, v0
	s_cmpk_eq_i32 s4, 0x100
	s_mov_b64 s[4:5], -1
	s_mov_b32 s32, 0
	s_cbranch_scc1 .LBB29_2
; %bb.1:
	s_add_u32 s8, s26, 0x58
	s_addc_u32 s9, s27, 0
	s_getpc_b64 s[4:5]
	s_add_u32 s4, s4, __PRETTY_FUNCTION__._ZN10amd_detail9transformIDF16_DF16_Lb0ELb1ELb0ELj16ELj16ELj4EEEvPT_PKS1_S4_T0_PKS5_S5_S7_jjjjjjbb@rel32@lo+4
	s_addc_u32 s5, s5, __PRETTY_FUNCTION__._ZN10amd_detail9transformIDF16_DF16_Lb0ELb1ELb0ELj16ELj16ELj4EEEvPT_PKS1_S4_T0_PKS5_S5_S7_jjjjjjbb@rel32@hi+12
	s_getpc_b64 s[6:7]
	s_add_u32 s6, s6, __assert_fail@rel32@lo+4
	s_addc_u32 s7, s7, __assert_fail@rel32@hi+12
	v_mov_b32_e32 v0, s4
	v_mov_b32_e32 v1, s5
	s_swappc_b64 s[30:31], s[6:7]
	s_mov_b64 s[4:5], 0
	; divergent unreachable
.LBB29_2:
	s_andn2_b64 vcc, exec, s[4:5]
	s_cbranch_vccnz .LBB29_54
; %bb.3:
	s_load_dwordx8 s[12:19], s[26:27], 0x38
	s_waitcnt lgkmcnt(0)
	s_lshr_b32 s6, s12, 6
	s_and_b32 s4, s12, 63
	s_cmp_lg_u32 s4, 0
	s_cselect_b64 s[4:5], -1, 0
	s_cmp_lg_u64 s[4:5], 0
	s_addc_u32 s6, s6, 0
	v_cvt_f32_u32_e32 v0, s6
	s_load_dword s8, s[26:27], 0x18
	s_load_dwordx2 s[4:5], s[26:27], 0x20
	s_sub_i32 s7, 0, s6
	v_rcp_iflag_f32_e32 v0, v0
	s_waitcnt lgkmcnt(0)
	v_mov_b32_e32 v8, s8
	v_mul_f32_e32 v0, 0x4f7ffffe, v0
	v_cvt_u32_f32_e32 v0, v0
	v_readfirstlane_b32 s9, v0
	s_mul_i32 s7, s7, s9
	s_mul_hi_u32 s7, s9, s7
	s_add_i32 s9, s9, s7
	s_mul_hi_u32 s7, s28, s9
	s_cmp_eq_u64 s[4:5], 0
	s_cbranch_scc1 .LBB29_5
; %bb.4:
	v_mov_b32_e32 v0, 0
	global_load_ushort v8, v0, s[4:5]
.LBB29_5:
	s_load_dwordx2 s[4:5], s[26:27], 0x30
	s_load_dword s8, s[26:27], 0x28
	s_waitcnt lgkmcnt(0)
	s_cmp_eq_u64 s[4:5], 0
	v_mov_b32_e32 v10, s8
	s_cbranch_scc1 .LBB29_7
; %bb.6:
	v_mov_b32_e32 v0, 0
	global_load_ushort v10, v0, s[4:5]
.LBB29_7:
	s_mul_i32 s4, s7, s6
	s_sub_i32 s4, s28, s4
	s_add_i32 s5, s7, 1
	s_sub_i32 s8, s4, s6
	s_cmp_ge_u32 s4, s6
	s_cselect_b32 s5, s5, s7
	s_cselect_b32 s4, s8, s4
	s_add_i32 s7, s5, 1
	s_cmp_ge_u32 s4, s6
	s_cselect_b32 s30, s7, s5
	v_lshrrev_b32_e32 v0, 4, v41
	v_lshl_add_u32 v0, s30, 4, v0
	v_cmp_gt_u32_e32 vcc, s13, v0
	s_and_saveexec_b64 s[4:5], vcc
	s_cbranch_execz .LBB29_54
; %bb.8:
	s_mul_i32 s30, s30, s6
	v_lshlrev_b32_e32 v1, 2, v41
	s_sub_i32 s4, s28, s30
	v_and_b32_e32 v9, 60, v1
	v_lshl_or_b32 v12, s4, 6, v9
	v_add_u32_e32 v13, 4, v12
	s_load_dwordx4 s[20:23], s[26:27], 0x0
	s_load_dwordx2 s[24:25], s[26:27], 0x10
	v_sub_u32_e64 v11, v13, s12 clamp
	v_sub_u32_e32 v1, v12, v11
	v_mad_u64_u32 v[4:5], s[4:5], v0, s14, v[1:2]
	s_bitcmp1_b32 s18, 0
	s_cselect_b64 vcc, -1, 0
	s_waitcnt lgkmcnt(0)
	s_cmp_lg_u64 s[22:23], 0
	s_mul_i32 s13, s17, s29
	s_cselect_b64 s[10:11], -1, 0
	s_cmp_eq_u64 s[22:23], 0
	v_mov_b32_e32 v14, 0
	v_mov_b32_e32 v15, 0
	s_cbranch_scc1 .LBB29_10
; %bb.9:
	v_mad_u64_u32 v[2:3], s[4:5], v1, s14, v[0:1]
	v_mov_b32_e32 v3, 0
	v_mov_b32_e32 v5, s23
	v_cndmask_b32_e32 v2, v4, v2, vcc
	v_add_u32_e32 v2, s13, v2
	v_lshlrev_b64 v[2:3], 1, v[2:3]
	v_add_co_u32_e64 v2, s[4:5], s22, v2
	v_addc_co_u32_e64 v3, s[4:5], v5, v3, s[4:5]
	global_load_ushort v15, v[2:3], off
.LBB29_10:
	s_load_dword s6, s[26:27], 0x50
	s_xor_b64 s[8:9], vcc, -1
	v_mad_u64_u32 v[2:3], s[4:5], v0, s15, v[1:2]
	s_waitcnt lgkmcnt(0)
	s_bitcmp1_b32 s6, 8
	s_cselect_b64 s[6:7], -1, 0
	s_cmp_lg_u64 s[24:25], 0
	s_cselect_b64 s[18:19], -1, 0
	s_cmp_eq_u64 s[24:25], 0
	s_cbranch_scc1 .LBB29_12
; %bb.11:
	v_mad_u64_u32 v[5:6], s[4:5], v1, s15, v[0:1]
	v_mov_b32_e32 v6, 0
	v_mov_b32_e32 v3, s25
	v_cndmask_b32_e64 v5, v5, v2, s[6:7]
	v_add_u32_e32 v5, s13, v5
	v_lshlrev_b64 v[5:6], 1, v[5:6]
	v_add_co_u32_e32 v5, vcc, s24, v5
	v_addc_co_u32_e32 v6, vcc, v3, v6, vcc
	global_load_ushort v14, v[5:6], off
.LBB29_12:
	v_cndmask_b32_e64 v3, 0, 1, s[8:9]
	v_cmp_ne_u32_e64 s[4:5], 1, v3
	s_andn2_b64 vcc, exec, s[8:9]
	s_cbranch_vccnz .LBB29_14
; %bb.13:
	v_add_u32_e32 v3, 1, v4
	s_xor_b64 s[8:9], s[6:7], -1
	s_cbranch_execz .LBB29_15
	s_branch .LBB29_16
.LBB29_14:
                                        ; implicit-def: $vgpr3
	s_xor_b64 s[8:9], s[6:7], -1
.LBB29_15:
	v_mul_lo_u32 v3, s14, v1
	v_add3_u32 v3, v3, s14, v0
.LBB29_16:
	v_cndmask_b32_e64 v5, 0, 1, s[8:9]
	v_cmp_ne_u32_e64 s[6:7], 1, v5
	s_andn2_b64 vcc, exec, s[8:9]
	s_cbranch_vccnz .LBB29_18
; %bb.17:
	v_mul_lo_u32 v5, s15, v1
	v_add3_u32 v5, v5, s15, v0
	s_cbranch_execz .LBB29_19
	s_branch .LBB29_20
.LBB29_18:
                                        ; implicit-def: $vgpr5
.LBB29_19:
	v_add_u32_e32 v5, 1, v2
.LBB29_20:
	v_cndmask_b32_e64 v6, 0, 1, s[10:11]
	v_mov_b32_e32 v16, 0
	v_cmp_ne_u32_e64 s[8:9], 1, v6
	s_andn2_b64 vcc, exec, s[10:11]
	v_mov_b32_e32 v17, 0
	s_cbranch_vccnz .LBB29_22
; %bb.21:
	v_add_u32_e32 v6, s13, v3
	v_mov_b32_e32 v7, 0
	v_lshlrev_b64 v[6:7], 1, v[6:7]
	v_mov_b32_e32 v3, s23
	v_add_co_u32_e32 v6, vcc, s22, v6
	v_addc_co_u32_e32 v7, vcc, v3, v7, vcc
	global_load_ushort v17, v[6:7], off
.LBB29_22:
	v_cndmask_b32_e64 v3, 0, 1, s[18:19]
	v_cmp_ne_u32_e64 s[10:11], 1, v3
	s_andn2_b64 vcc, exec, s[18:19]
	s_cbranch_vccnz .LBB29_24
; %bb.23:
	v_add_u32_e32 v5, s13, v5
	v_mov_b32_e32 v6, 0
	v_lshlrev_b64 v[5:6], 1, v[5:6]
	v_mov_b32_e32 v3, s25
	v_add_co_u32_e32 v5, vcc, s24, v5
	v_addc_co_u32_e32 v6, vcc, v3, v6, vcc
	global_load_ushort v16, v[5:6], off
.LBB29_24:
	s_and_b64 vcc, exec, s[4:5]
	s_cbranch_vccnz .LBB29_26
; %bb.25:
	v_add_u32_e32 v5, 2, v4
	v_add_u32_e32 v3, 2, v1
	s_cbranch_execz .LBB29_27
	s_branch .LBB29_28
.LBB29_26:
                                        ; implicit-def: $vgpr5
	v_add_u32_e32 v3, 2, v1
.LBB29_27:
	v_mad_u64_u32 v[5:6], s[18:19], v3, s14, v[0:1]
.LBB29_28:
	s_and_b64 vcc, exec, s[6:7]
	s_cbranch_vccnz .LBB29_30
; %bb.29:
	v_mad_u64_u32 v[6:7], s[18:19], v3, s15, v[0:1]
	s_cbranch_execz .LBB29_31
	s_branch .LBB29_32
.LBB29_30:
                                        ; implicit-def: $vgpr6
.LBB29_31:
	v_add_u32_e32 v6, 2, v2
.LBB29_32:
	v_mov_b32_e32 v7, 0
	s_and_b64 vcc, exec, s[8:9]
	v_mov_b32_e32 v18, 0
	s_cbranch_vccnz .LBB29_34
; %bb.33:
	v_add_u32_e32 v18, s13, v5
	v_mov_b32_e32 v19, 0
	v_lshlrev_b64 v[18:19], 1, v[18:19]
	v_mov_b32_e32 v3, s23
	v_add_co_u32_e32 v18, vcc, s22, v18
	v_addc_co_u32_e32 v19, vcc, v3, v19, vcc
	global_load_ushort v18, v[18:19], off
.LBB29_34:
	s_and_b64 vcc, exec, s[10:11]
	s_cbranch_vccnz .LBB29_36
; %bb.35:
	v_add_u32_e32 v5, s13, v6
	v_mov_b32_e32 v6, 0
	v_lshlrev_b64 v[5:6], 1, v[5:6]
	v_mov_b32_e32 v3, s25
	v_add_co_u32_e32 v5, vcc, s24, v5
	v_addc_co_u32_e32 v6, vcc, v3, v6, vcc
	global_load_ushort v7, v[5:6], off
.LBB29_36:
	s_and_b64 vcc, exec, s[4:5]
	s_cbranch_vccnz .LBB29_38
; %bb.37:
	v_add_u32_e32 v3, 3, v4
	v_add_u32_e32 v1, 3, v1
	s_cbranch_execz .LBB29_39
	s_branch .LBB29_40
.LBB29_38:
                                        ; implicit-def: $vgpr3
	v_add_u32_e32 v1, 3, v1
.LBB29_39:
	v_mad_u64_u32 v[3:4], s[4:5], v1, s14, v[0:1]
.LBB29_40:
	s_and_b64 vcc, exec, s[6:7]
	s_cbranch_vccnz .LBB29_42
; %bb.41:
	v_mad_u64_u32 v[4:5], s[4:5], v1, s15, v[0:1]
	s_cbranch_execz .LBB29_43
	s_branch .LBB29_44
.LBB29_42:
                                        ; implicit-def: $vgpr4
.LBB29_43:
	v_add_u32_e32 v4, 3, v2
.LBB29_44:
	v_mov_b32_e32 v2, 0
	s_and_b64 vcc, exec, s[8:9]
	v_mov_b32_e32 v5, 0
	s_cbranch_vccnz .LBB29_46
; %bb.45:
	v_add_u32_e32 v5, s13, v3
	v_mov_b32_e32 v6, 0
	v_lshlrev_b64 v[5:6], 1, v[5:6]
	v_mov_b32_e32 v1, s23
	v_add_co_u32_e32 v5, vcc, s22, v5
	v_addc_co_u32_e32 v6, vcc, v1, v6, vcc
	global_load_ushort v5, v[5:6], off
.LBB29_46:
	s_and_b64 vcc, exec, s[10:11]
	s_cbranch_vccnz .LBB29_48
; %bb.47:
	v_add_u32_e32 v1, s13, v4
	v_mov_b32_e32 v2, 0
	v_lshlrev_b64 v[1:2], 1, v[1:2]
	v_mov_b32_e32 v3, s25
	v_add_co_u32_e32 v1, vcc, s24, v1
	v_addc_co_u32_e32 v2, vcc, v3, v2, vcc
	global_load_ushort v2, v[1:2], off
.LBB29_48:
	s_mov_b32 s4, 0x5040100
	s_waitcnt vmcnt(0)
	v_perm_b32 v3, v16, v14, s4
	v_perm_b32 v1, v17, v15, s4
	v_pk_mul_f16 v3, v10, v3 op_sel_hi:[0,1]
	v_pk_fma_f16 v1, v8, v1, v3 op_sel_hi:[0,1,1]
	v_mul_lo_u32 v3, v0, s16
	v_perm_b32 v2, v2, v7, s4
	v_perm_b32 v4, v5, v18, s4
	v_pk_mul_f16 v0, v10, v2 op_sel_hi:[0,1]
	v_pk_fma_f16 v2, v8, v4, v0 op_sel_hi:[0,1,1]
	v_cmp_ge_u32_e32 vcc, s12, v13
	s_and_saveexec_b64 s[4:5], vcc
	s_xor_b64 s[4:5], exec, s[4:5]
	s_cbranch_execz .LBB29_50
; %bb.49:
	v_add_u32_e32 v0, s13, v12
	v_sub_u32_e32 v0, v0, v11
	v_add_u32_e32 v3, v0, v3
	v_mov_b32_e32 v4, 0
	v_lshlrev_b64 v[5:6], 1, v[3:4]
	v_mov_b32_e32 v0, s21
	v_add_co_u32_e32 v5, vcc, s20, v5
	v_addc_co_u32_e32 v6, vcc, v0, v6, vcc
	global_store_short v[5:6], v1, off
	v_add_u32_e32 v5, 1, v3
	v_mov_b32_e32 v6, v4
	v_lshlrev_b64 v[5:6], 1, v[5:6]
                                        ; implicit-def: $vgpr11
                                        ; implicit-def: $vgpr9
	v_add_co_u32_e32 v5, vcc, s20, v5
	v_addc_co_u32_e32 v6, vcc, v0, v6, vcc
	global_store_short_d16_hi v[5:6], v1, off
	v_add_u32_e32 v0, 2, v3
	v_mov_b32_e32 v1, v4
	v_lshlrev_b64 v[0:1], 1, v[0:1]
	v_mov_b32_e32 v5, s21
	v_add_co_u32_e32 v0, vcc, s20, v0
	v_addc_co_u32_e32 v1, vcc, v5, v1, vcc
	v_add_u32_e32 v3, 3, v3
	global_store_short v[0:1], v2, off
	v_lshlrev_b64 v[0:1], 1, v[3:4]
	v_mov_b32_e32 v3, s21
	v_add_co_u32_e32 v0, vcc, s20, v0
	v_addc_co_u32_e32 v1, vcc, v3, v1, vcc
	global_store_short_d16_hi v[0:1], v2, off
                                        ; implicit-def: $vgpr1
                                        ; implicit-def: $vgpr3
.LBB29_50:
	s_andn2_saveexec_b64 s[4:5], s[4:5]
	s_cbranch_execz .LBB29_54
; %bb.51:
	v_cmp_gt_u32_e32 vcc, 4, v11
	s_and_b64 exec, exec, vcc
	s_cbranch_execz .LBB29_54
; %bb.52:
	v_lshl_or_b32 v4, s28, 6, v9
	s_lshl_b32 s4, s30, 6
	v_subrev_u32_e32 v0, s4, v4
	v_add_u32_e32 v5, 4, v0
	v_min_u32_e32 v6, s12, v5
	v_add3_u32 v3, s13, v3, v4
	v_mov_b32_e32 v4, 0
	v_sub_u32_e32 v0, v0, v6
	v_subrev_u32_e32 v8, s4, v3
	v_sub_u32_e32 v3, v5, v6
	v_mov_b32_e32 v6, v4
	v_add_u32_e32 v0, 3, v0
	s_mov_b64 s[6:7], 0
	v_mov_b32_e32 v7, s21
	v_mov_b32_e32 v5, v3
	v_mov_b32_e32 v3, v8
.LBB29_53:                              ; =>This Inner Loop Header: Depth=1
	v_lshlrev_b32_e32 v10, 4, v5
	v_lshlrev_b64 v[8:9], 1, v[3:4]
	v_add_co_u32_e32 v5, vcc, 1, v5
	v_add_u32_e32 v0, 1, v0
	v_addc_co_u32_e32 v6, vcc, 0, v6, vcc
	v_lshrrev_b64 v[10:11], v10, v[1:2]
	v_cmp_lt_u32_e32 vcc, 2, v0
	v_add_co_u32_e64 v8, s[4:5], s20, v8
	v_add_u32_e32 v3, 1, v3
	v_addc_co_u32_e64 v9, s[4:5], v7, v9, s[4:5]
	s_or_b64 s[6:7], vcc, s[6:7]
	global_store_short v[8:9], v10, off
	s_andn2_b64 exec, exec, s[6:7]
	s_cbranch_execnz .LBB29_53
.LBB29_54:
	s_endpgm
	.section	.rodata,"a",@progbits
	.p2align	6, 0x0
	.amdhsa_kernel Transform_H_H_010_16_16_VW_4
		.amdhsa_group_segment_fixed_size 0
		.amdhsa_private_segment_fixed_size 64
		.amdhsa_kernarg_size 344
		.amdhsa_user_sgpr_count 8
		.amdhsa_user_sgpr_private_segment_buffer 1
		.amdhsa_user_sgpr_dispatch_ptr 0
		.amdhsa_user_sgpr_queue_ptr 0
		.amdhsa_user_sgpr_kernarg_segment_ptr 1
		.amdhsa_user_sgpr_dispatch_id 0
		.amdhsa_user_sgpr_flat_scratch_init 1
		.amdhsa_user_sgpr_private_segment_size 0
		.amdhsa_uses_dynamic_stack 0
		.amdhsa_system_sgpr_private_segment_wavefront_offset 1
		.amdhsa_system_sgpr_workgroup_id_x 1
		.amdhsa_system_sgpr_workgroup_id_y 0
		.amdhsa_system_sgpr_workgroup_id_z 1
		.amdhsa_system_sgpr_workgroup_info 0
		.amdhsa_system_vgpr_workitem_id 0
		.amdhsa_next_free_vgpr 42
		.amdhsa_next_free_sgpr 34
		.amdhsa_reserve_vcc 1
		.amdhsa_reserve_flat_scratch 1
		.amdhsa_float_round_mode_32 0
		.amdhsa_float_round_mode_16_64 0
		.amdhsa_float_denorm_mode_32 3
		.amdhsa_float_denorm_mode_16_64 3
		.amdhsa_dx10_clamp 1
		.amdhsa_ieee_mode 1
		.amdhsa_fp16_overflow 0
		.amdhsa_exception_fp_ieee_invalid_op 0
		.amdhsa_exception_fp_denorm_src 0
		.amdhsa_exception_fp_ieee_div_zero 0
		.amdhsa_exception_fp_ieee_overflow 0
		.amdhsa_exception_fp_ieee_underflow 0
		.amdhsa_exception_fp_ieee_inexact 0
		.amdhsa_exception_int_div_zero 0
	.end_amdhsa_kernel
	.text
.Lfunc_end29:
	.size	Transform_H_H_010_16_16_VW_4, .Lfunc_end29-Transform_H_H_010_16_16_VW_4
                                        ; -- End function
	.set Transform_H_H_010_16_16_VW_4.num_vgpr, max(42, .L__assert_fail.num_vgpr)
	.set Transform_H_H_010_16_16_VW_4.num_agpr, max(0, .L__assert_fail.num_agpr)
	.set Transform_H_H_010_16_16_VW_4.numbered_sgpr, max(33, .L__assert_fail.numbered_sgpr)
	.set Transform_H_H_010_16_16_VW_4.num_named_barrier, max(0, .L__assert_fail.num_named_barrier)
	.set Transform_H_H_010_16_16_VW_4.private_seg_size, 0+max(.L__assert_fail.private_seg_size)
	.set Transform_H_H_010_16_16_VW_4.uses_vcc, or(1, .L__assert_fail.uses_vcc)
	.set Transform_H_H_010_16_16_VW_4.uses_flat_scratch, or(1, .L__assert_fail.uses_flat_scratch)
	.set Transform_H_H_010_16_16_VW_4.has_dyn_sized_stack, or(0, .L__assert_fail.has_dyn_sized_stack)
	.set Transform_H_H_010_16_16_VW_4.has_recursion, or(0, .L__assert_fail.has_recursion)
	.set Transform_H_H_010_16_16_VW_4.has_indirect_call, or(0, .L__assert_fail.has_indirect_call)
	.section	.AMDGPU.csdata,"",@progbits
; Kernel info:
; codeLenInByte = 1612
; TotalNumSgprs: 40
; NumVgprs: 42
; ScratchSize: 64
; MemoryBound: 0
; FloatMode: 240
; IeeeMode: 1
; LDSByteSize: 0 bytes/workgroup (compile time only)
; SGPRBlocks: 4
; VGPRBlocks: 10
; NumSGPRsForWavesPerEU: 40
; NumVGPRsForWavesPerEU: 42
; Occupancy: 5
; WaveLimiterHint : 1
; COMPUTE_PGM_RSRC2:SCRATCH_EN: 1
; COMPUTE_PGM_RSRC2:USER_SGPR: 8
; COMPUTE_PGM_RSRC2:TRAP_HANDLER: 0
; COMPUTE_PGM_RSRC2:TGID_X_EN: 1
; COMPUTE_PGM_RSRC2:TGID_Y_EN: 0
; COMPUTE_PGM_RSRC2:TGID_Z_EN: 1
; COMPUTE_PGM_RSRC2:TIDIG_COMP_CNT: 0
	.text
	.protected	Transform_H_H_001_16_16_VW_1 ; -- Begin function Transform_H_H_001_16_16_VW_1
	.globl	Transform_H_H_001_16_16_VW_1
	.p2align	8
	.type	Transform_H_H_001_16_16_VW_1,@function
Transform_H_H_001_16_16_VW_1:           ; @Transform_H_H_001_16_16_VW_1
; %bb.0:
	s_mov_b64 s[26:27], s[4:5]
	s_load_dword s4, s[4:5], 0x64
	s_add_u32 flat_scratch_lo, s6, s10
	s_addc_u32 flat_scratch_hi, s7, 0
	s_add_u32 s0, s0, s10
	s_addc_u32 s1, s1, 0
	s_waitcnt lgkmcnt(0)
	s_and_b32 s4, s4, 0xffff
	s_mov_b32 s28, s9
	s_mov_b32 s29, s8
	v_mov_b32_e32 v41, v0
	s_cmpk_eq_i32 s4, 0x100
	s_mov_b64 s[4:5], -1
	s_mov_b32 s32, 0
	s_cbranch_scc1 .LBB30_2
; %bb.1:
	s_add_u32 s8, s26, 0x58
	s_addc_u32 s9, s27, 0
	s_getpc_b64 s[4:5]
	s_add_u32 s4, s4, __PRETTY_FUNCTION__._ZN10amd_detail9transformIDF16_DF16_Lb0ELb0ELb1ELj16ELj16ELj1EEEvPT_PKS1_S4_T0_PKS5_S5_S7_jjjjjjbb@rel32@lo+4
	s_addc_u32 s5, s5, __PRETTY_FUNCTION__._ZN10amd_detail9transformIDF16_DF16_Lb0ELb0ELb1ELj16ELj16ELj1EEEvPT_PKS1_S4_T0_PKS5_S5_S7_jjjjjjbb@rel32@hi+12
	s_getpc_b64 s[6:7]
	s_add_u32 s6, s6, __assert_fail@rel32@lo+4
	s_addc_u32 s7, s7, __assert_fail@rel32@hi+12
	v_mov_b32_e32 v0, s4
	v_mov_b32_e32 v1, s5
	s_swappc_b64 s[30:31], s[6:7]
	s_mov_b64 s[4:5], 0
	; divergent unreachable
.LBB30_2:
	s_andn2_b64 vcc, exec, s[4:5]
	s_cbranch_vccnz .LBB30_13
; %bb.3:
	s_load_dwordx8 s[4:11], s[26:27], 0x38
	s_waitcnt lgkmcnt(0)
	s_lshr_b32 s11, s4, 4
	s_and_b32 s12, s4, 15
	s_cmp_lg_u32 s12, 0
	s_cselect_b64 s[12:13], -1, 0
	s_cmp_lg_u64 s[12:13], 0
	s_addc_u32 s11, s11, 0
	v_cvt_f32_u32_e32 v0, s11
	s_load_dword s15, s[26:27], 0x18
	s_load_dwordx2 s[12:13], s[26:27], 0x20
	s_sub_i32 s14, 0, s11
	v_rcp_iflag_f32_e32 v0, v0
	v_mul_f32_e32 v0, 0x4f7ffffe, v0
	v_cvt_u32_f32_e32 v0, v0
	v_readfirstlane_b32 s16, v0
	s_mul_i32 s14, s14, s16
	s_mul_hi_u32 s14, s16, s14
	s_add_i32 s16, s16, s14
	s_mul_hi_u32 s14, s29, s16
	s_waitcnt lgkmcnt(0)
	s_cmp_eq_u64 s[12:13], 0
	v_mov_b32_e32 v0, s15
	s_cbranch_scc1 .LBB30_5
; %bb.4:
	v_mov_b32_e32 v0, 0
	global_load_ushort v0, v0, s[12:13]
.LBB30_5:
	s_load_dwordx2 s[12:13], s[26:27], 0x30
	s_load_dword s15, s[26:27], 0x28
	s_waitcnt lgkmcnt(0)
	s_cmp_eq_u64 s[12:13], 0
	v_mov_b32_e32 v1, s15
	s_cbranch_scc1 .LBB30_7
; %bb.6:
	v_mov_b32_e32 v1, 0
	global_load_ushort v1, v1, s[12:13]
.LBB30_7:
	s_mul_i32 s12, s14, s11
	s_sub_i32 s12, s29, s12
	s_add_i32 s13, s14, 1
	s_sub_i32 s15, s12, s11
	s_cmp_ge_u32 s12, s11
	s_cselect_b32 s13, s13, s14
	s_cselect_b32 s12, s15, s12
	s_add_i32 s14, s13, 1
	s_cmp_ge_u32 s12, s11
	s_cselect_b32 s12, s14, s13
	s_mul_i32 s11, s12, s11
	s_sub_i32 s11, s29, s11
	v_and_b32_e32 v2, 15, v41
	v_lshrrev_b32_e32 v4, 4, v41
	v_lshl_or_b32 v3, s11, 4, v2
	v_lshl_add_u32 v2, s12, 4, v4
	v_cmp_gt_u32_e32 vcc, s4, v3
	v_cmp_gt_u32_e64 s[4:5], s5, v2
	s_and_b64 s[4:5], vcc, s[4:5]
	s_and_saveexec_b64 s[12:13], s[4:5]
	s_cbranch_execz .LBB30_13
; %bb.8:
	s_load_dwordx4 s[12:15], s[26:27], 0x0
	s_load_dwordx2 s[4:5], s[26:27], 0x10
	s_mul_i32 s9, s9, s28
	v_mov_b32_e32 v5, 0
	v_mov_b32_e32 v4, 0
	s_waitcnt lgkmcnt(0)
	s_cmp_eq_u64 s[14:15], 0
	s_cbranch_scc1 .LBB30_10
; %bb.9:
	s_bitcmp1_b32 s10, 0
	s_cselect_b64 vcc, -1, 0
	v_cndmask_b32_e32 v4, v2, v3, vcc
	v_mul_lo_u32 v4, v4, s6
	v_cndmask_b32_e32 v6, v3, v2, vcc
	v_mov_b32_e32 v7, 0
	v_add3_u32 v6, v6, s9, v4
	v_lshlrev_b64 v[6:7], 1, v[6:7]
	v_mov_b32_e32 v4, s15
	v_add_co_u32_e32 v6, vcc, s14, v6
	v_addc_co_u32_e32 v7, vcc, v4, v7, vcc
	global_load_ushort v4, v[6:7], off
.LBB30_10:
	s_cmp_eq_u64 s[4:5], 0
	s_cbranch_scc1 .LBB30_12
; %bb.11:
	s_load_dword s6, s[26:27], 0x50
	v_mov_b32_e32 v6, 0
	v_mov_b32_e32 v7, s5
	s_waitcnt lgkmcnt(0)
	s_bitcmp1_b32 s6, 8
	s_cselect_b64 vcc, -1, 0
	v_cndmask_b32_e32 v5, v2, v3, vcc
	v_mul_lo_u32 v5, v5, s7
	v_cndmask_b32_e32 v8, v3, v2, vcc
	v_add3_u32 v5, v8, s9, v5
	v_lshlrev_b64 v[5:6], 1, v[5:6]
	v_add_co_u32_e32 v5, vcc, s4, v5
	v_addc_co_u32_e32 v6, vcc, v7, v6, vcc
	global_load_ushort v5, v[5:6], off
.LBB30_12:
	v_mul_lo_u32 v3, v3, s8
	s_waitcnt vmcnt(0)
	v_mul_f16_e32 v5, v1, v5
	v_mov_b32_e32 v1, 0
	v_fma_f16 v4, v0, v4, v5
	v_add3_u32 v0, v2, s9, v3
	v_lshlrev_b64 v[0:1], 1, v[0:1]
	v_mov_b32_e32 v2, s13
	v_add_co_u32_e32 v0, vcc, s12, v0
	v_addc_co_u32_e32 v1, vcc, v2, v1, vcc
	global_store_short v[0:1], v4, off
.LBB30_13:
	s_endpgm
	.section	.rodata,"a",@progbits
	.p2align	6, 0x0
	.amdhsa_kernel Transform_H_H_001_16_16_VW_1
		.amdhsa_group_segment_fixed_size 0
		.amdhsa_private_segment_fixed_size 64
		.amdhsa_kernarg_size 344
		.amdhsa_user_sgpr_count 8
		.amdhsa_user_sgpr_private_segment_buffer 1
		.amdhsa_user_sgpr_dispatch_ptr 0
		.amdhsa_user_sgpr_queue_ptr 0
		.amdhsa_user_sgpr_kernarg_segment_ptr 1
		.amdhsa_user_sgpr_dispatch_id 0
		.amdhsa_user_sgpr_flat_scratch_init 1
		.amdhsa_user_sgpr_private_segment_size 0
		.amdhsa_uses_dynamic_stack 0
		.amdhsa_system_sgpr_private_segment_wavefront_offset 1
		.amdhsa_system_sgpr_workgroup_id_x 1
		.amdhsa_system_sgpr_workgroup_id_y 0
		.amdhsa_system_sgpr_workgroup_id_z 1
		.amdhsa_system_sgpr_workgroup_info 0
		.amdhsa_system_vgpr_workitem_id 0
		.amdhsa_next_free_vgpr 42
		.amdhsa_next_free_sgpr 34
		.amdhsa_reserve_vcc 1
		.amdhsa_reserve_flat_scratch 1
		.amdhsa_float_round_mode_32 0
		.amdhsa_float_round_mode_16_64 0
		.amdhsa_float_denorm_mode_32 3
		.amdhsa_float_denorm_mode_16_64 3
		.amdhsa_dx10_clamp 1
		.amdhsa_ieee_mode 1
		.amdhsa_fp16_overflow 0
		.amdhsa_exception_fp_ieee_invalid_op 0
		.amdhsa_exception_fp_denorm_src 0
		.amdhsa_exception_fp_ieee_div_zero 0
		.amdhsa_exception_fp_ieee_overflow 0
		.amdhsa_exception_fp_ieee_underflow 0
		.amdhsa_exception_fp_ieee_inexact 0
		.amdhsa_exception_int_div_zero 0
	.end_amdhsa_kernel
	.text
.Lfunc_end30:
	.size	Transform_H_H_001_16_16_VW_1, .Lfunc_end30-Transform_H_H_001_16_16_VW_1
                                        ; -- End function
	.set Transform_H_H_001_16_16_VW_1.num_vgpr, max(42, .L__assert_fail.num_vgpr)
	.set Transform_H_H_001_16_16_VW_1.num_agpr, max(0, .L__assert_fail.num_agpr)
	.set Transform_H_H_001_16_16_VW_1.numbered_sgpr, max(33, .L__assert_fail.numbered_sgpr)
	.set Transform_H_H_001_16_16_VW_1.num_named_barrier, max(0, .L__assert_fail.num_named_barrier)
	.set Transform_H_H_001_16_16_VW_1.private_seg_size, 0+max(.L__assert_fail.private_seg_size)
	.set Transform_H_H_001_16_16_VW_1.uses_vcc, or(1, .L__assert_fail.uses_vcc)
	.set Transform_H_H_001_16_16_VW_1.uses_flat_scratch, or(1, .L__assert_fail.uses_flat_scratch)
	.set Transform_H_H_001_16_16_VW_1.has_dyn_sized_stack, or(0, .L__assert_fail.has_dyn_sized_stack)
	.set Transform_H_H_001_16_16_VW_1.has_recursion, or(0, .L__assert_fail.has_recursion)
	.set Transform_H_H_001_16_16_VW_1.has_indirect_call, or(0, .L__assert_fail.has_indirect_call)
	.section	.AMDGPU.csdata,"",@progbits
; Kernel info:
; codeLenInByte = 664
; TotalNumSgprs: 40
; NumVgprs: 42
; ScratchSize: 64
; MemoryBound: 0
; FloatMode: 240
; IeeeMode: 1
; LDSByteSize: 0 bytes/workgroup (compile time only)
; SGPRBlocks: 4
; VGPRBlocks: 10
; NumSGPRsForWavesPerEU: 40
; NumVGPRsForWavesPerEU: 42
; Occupancy: 5
; WaveLimiterHint : 1
; COMPUTE_PGM_RSRC2:SCRATCH_EN: 1
; COMPUTE_PGM_RSRC2:USER_SGPR: 8
; COMPUTE_PGM_RSRC2:TRAP_HANDLER: 0
; COMPUTE_PGM_RSRC2:TGID_X_EN: 1
; COMPUTE_PGM_RSRC2:TGID_Y_EN: 0
; COMPUTE_PGM_RSRC2:TGID_Z_EN: 1
; COMPUTE_PGM_RSRC2:TIDIG_COMP_CNT: 0
	.text
	.protected	Transform_H_H_001_16_16_VW_4 ; -- Begin function Transform_H_H_001_16_16_VW_4
	.globl	Transform_H_H_001_16_16_VW_4
	.p2align	8
	.type	Transform_H_H_001_16_16_VW_4,@function
Transform_H_H_001_16_16_VW_4:           ; @Transform_H_H_001_16_16_VW_4
; %bb.0:
	s_mov_b64 s[26:27], s[4:5]
	s_load_dword s4, s[4:5], 0x64
	s_add_u32 flat_scratch_lo, s6, s10
	s_addc_u32 flat_scratch_hi, s7, 0
	s_add_u32 s0, s0, s10
	s_addc_u32 s1, s1, 0
	s_waitcnt lgkmcnt(0)
	s_and_b32 s4, s4, 0xffff
	s_mov_b32 s29, s9
	s_mov_b32 s28, s8
	v_mov_b32_e32 v41, v0
	s_cmpk_eq_i32 s4, 0x100
	s_mov_b64 s[4:5], -1
	s_mov_b32 s32, 0
	s_cbranch_scc1 .LBB31_2
; %bb.1:
	s_add_u32 s8, s26, 0x58
	s_addc_u32 s9, s27, 0
	s_getpc_b64 s[4:5]
	s_add_u32 s4, s4, __PRETTY_FUNCTION__._ZN10amd_detail9transformIDF16_DF16_Lb0ELb0ELb1ELj16ELj16ELj4EEEvPT_PKS1_S4_T0_PKS5_S5_S7_jjjjjjbb@rel32@lo+4
	s_addc_u32 s5, s5, __PRETTY_FUNCTION__._ZN10amd_detail9transformIDF16_DF16_Lb0ELb0ELb1ELj16ELj16ELj4EEEvPT_PKS1_S4_T0_PKS5_S5_S7_jjjjjjbb@rel32@hi+12
	s_getpc_b64 s[6:7]
	s_add_u32 s6, s6, __assert_fail@rel32@lo+4
	s_addc_u32 s7, s7, __assert_fail@rel32@hi+12
	v_mov_b32_e32 v0, s4
	v_mov_b32_e32 v1, s5
	s_swappc_b64 s[30:31], s[6:7]
	s_mov_b64 s[4:5], 0
	; divergent unreachable
.LBB31_2:
	s_andn2_b64 vcc, exec, s[4:5]
	s_cbranch_vccnz .LBB31_54
; %bb.3:
	s_load_dwordx4 s[12:15], s[26:27], 0x38
	s_waitcnt lgkmcnt(0)
	s_lshr_b32 s6, s12, 4
	s_and_b32 s4, s12, 15
	s_cmp_lg_u32 s4, 0
	s_cselect_b64 s[4:5], -1, 0
	s_cmp_lg_u64 s[4:5], 0
	s_addc_u32 s6, s6, 0
	v_cvt_f32_u32_e32 v0, s6
	s_load_dword s8, s[26:27], 0x18
	s_load_dwordx2 s[4:5], s[26:27], 0x20
	s_sub_i32 s7, 0, s6
	v_rcp_iflag_f32_e32 v0, v0
	s_waitcnt lgkmcnt(0)
	v_mov_b32_e32 v12, s8
	v_mul_f32_e32 v0, 0x4f7ffffe, v0
	v_cvt_u32_f32_e32 v0, v0
	v_readfirstlane_b32 s9, v0
	s_mul_i32 s7, s7, s9
	s_mul_hi_u32 s7, s9, s7
	s_add_i32 s9, s9, s7
	s_mul_hi_u32 s7, s28, s9
	s_cmp_eq_u64 s[4:5], 0
	s_cbranch_scc1 .LBB31_5
; %bb.4:
	v_mov_b32_e32 v0, 0
	global_load_ushort v12, v0, s[4:5]
.LBB31_5:
	s_load_dwordx2 s[4:5], s[26:27], 0x30
	s_load_dword s8, s[26:27], 0x28
	s_waitcnt lgkmcnt(0)
	s_cmp_eq_u64 s[4:5], 0
	v_mov_b32_e32 v14, s8
	s_cbranch_scc1 .LBB31_7
; %bb.6:
	v_mov_b32_e32 v0, 0
	global_load_ushort v14, v0, s[4:5]
.LBB31_7:
	s_mul_i32 s4, s7, s6
	s_sub_i32 s4, s28, s4
	s_add_i32 s5, s7, 1
	s_sub_i32 s8, s4, s6
	s_cmp_ge_u32 s4, s6
	s_cselect_b32 s5, s5, s7
	s_cselect_b32 s4, s8, s4
	s_add_i32 s7, s5, 1
	s_cmp_ge_u32 s4, s6
	s_cselect_b32 s4, s7, s5
	s_mul_i32 s30, s4, s6
	s_sub_i32 s5, s28, s30
	v_and_b32_e32 v10, 15, v41
	v_lshl_or_b32 v1, s5, 4, v10
	v_cmp_gt_u32_e32 vcc, s12, v1
	s_and_saveexec_b64 s[6:7], vcc
	s_cbranch_execz .LBB31_54
; %bb.8:
	v_lshrrev_b32_e32 v0, 2, v41
	s_lshl_b32 s12, s4, 6
	v_and_b32_e32 v11, 0xfc, v0
	s_load_dwordx4 s[20:23], s[26:27], 0x48
	v_add_u32_e32 v9, s12, v11
	v_add_u32_e32 v13, 4, v9
	v_sub_u32_e64 v0, v13, s13 clamp
	s_load_dwordx4 s[16:19], s[26:27], 0x0
	s_load_dwordx2 s[24:25], s[26:27], 0x10
	v_sub_u32_e32 v5, v9, v0
	v_mad_u64_u32 v[2:3], s[4:5], v1, s14, v[5:6]
	s_waitcnt lgkmcnt(0)
	s_bitcmp1_b32 s22, 0
	s_cselect_b64 vcc, -1, 0
	s_cmp_lg_u64 s[18:19], 0
	s_mul_i32 s21, s21, s29
	s_cselect_b64 s[10:11], -1, 0
	s_cmp_eq_u64 s[18:19], 0
	v_mov_b32_e32 v15, 0
	v_mov_b32_e32 v16, 0
	s_cbranch_scc1 .LBB31_10
; %bb.9:
	v_mad_u64_u32 v[3:4], s[4:5], v5, s14, v[1:2]
	v_mov_b32_e32 v4, 0
	v_mov_b32_e32 v6, s19
	v_cndmask_b32_e32 v3, v3, v2, vcc
	v_add_u32_e32 v3, s21, v3
	v_lshlrev_b64 v[3:4], 1, v[3:4]
	v_add_co_u32_e64 v3, s[4:5], s18, v3
	v_addc_co_u32_e64 v4, s[4:5], v6, v4, s[4:5]
	global_load_ushort v16, v[3:4], off
.LBB31_10:
	s_load_dword s6, s[26:27], 0x50
	s_xor_b64 s[8:9], vcc, -1
	v_mad_u64_u32 v[3:4], s[4:5], v1, s15, v[5:6]
	s_waitcnt lgkmcnt(0)
	s_bitcmp1_b32 s6, 8
	s_cselect_b64 s[6:7], -1, 0
	s_cmp_lg_u64 s[24:25], 0
	s_cselect_b64 s[22:23], -1, 0
	s_cmp_eq_u64 s[24:25], 0
	s_cbranch_scc1 .LBB31_12
; %bb.11:
	v_mad_u64_u32 v[6:7], s[4:5], v5, s15, v[1:2]
	v_mov_b32_e32 v7, 0
	v_mov_b32_e32 v4, s25
	v_cndmask_b32_e64 v6, v6, v3, s[6:7]
	v_add_u32_e32 v6, s21, v6
	v_lshlrev_b64 v[6:7], 1, v[6:7]
	v_add_co_u32_e32 v6, vcc, s24, v6
	v_addc_co_u32_e32 v7, vcc, v4, v7, vcc
	global_load_ushort v15, v[6:7], off
.LBB31_12:
	v_cndmask_b32_e64 v4, 0, 1, s[8:9]
	v_cmp_ne_u32_e64 s[4:5], 1, v4
	s_andn2_b64 vcc, exec, s[8:9]
	s_cbranch_vccnz .LBB31_14
; %bb.13:
	v_mul_lo_u32 v4, s14, v5
	v_add3_u32 v4, v4, s14, v1
	s_xor_b64 s[8:9], s[6:7], -1
	s_cbranch_execz .LBB31_15
	s_branch .LBB31_16
.LBB31_14:
                                        ; implicit-def: $vgpr4
	s_xor_b64 s[8:9], s[6:7], -1
.LBB31_15:
	v_add_u32_e32 v4, 1, v2
.LBB31_16:
	v_cndmask_b32_e64 v6, 0, 1, s[8:9]
	v_cmp_ne_u32_e64 s[6:7], 1, v6
	s_andn2_b64 vcc, exec, s[8:9]
	s_cbranch_vccnz .LBB31_18
; %bb.17:
	v_mul_lo_u32 v6, s15, v5
	v_add3_u32 v6, v6, s15, v1
	s_cbranch_execz .LBB31_19
	s_branch .LBB31_20
.LBB31_18:
                                        ; implicit-def: $vgpr6
.LBB31_19:
	v_add_u32_e32 v6, 1, v3
.LBB31_20:
	v_cndmask_b32_e64 v7, 0, 1, s[10:11]
	v_mov_b32_e32 v17, 0
	v_cmp_ne_u32_e64 s[8:9], 1, v7
	s_andn2_b64 vcc, exec, s[10:11]
	v_mov_b32_e32 v18, 0
	s_cbranch_vccnz .LBB31_22
; %bb.21:
	v_add_u32_e32 v7, s21, v4
	v_mov_b32_e32 v8, 0
	v_lshlrev_b64 v[7:8], 1, v[7:8]
	v_mov_b32_e32 v4, s19
	v_add_co_u32_e32 v7, vcc, s18, v7
	v_addc_co_u32_e32 v8, vcc, v4, v8, vcc
	global_load_ushort v18, v[7:8], off
.LBB31_22:
	v_cndmask_b32_e64 v4, 0, 1, s[22:23]
	v_cmp_ne_u32_e64 s[10:11], 1, v4
	s_andn2_b64 vcc, exec, s[22:23]
	s_cbranch_vccnz .LBB31_24
; %bb.23:
	v_add_u32_e32 v6, s21, v6
	v_mov_b32_e32 v7, 0
	v_lshlrev_b64 v[6:7], 1, v[6:7]
	v_mov_b32_e32 v4, s25
	v_add_co_u32_e32 v6, vcc, s24, v6
	v_addc_co_u32_e32 v7, vcc, v4, v7, vcc
	global_load_ushort v17, v[6:7], off
.LBB31_24:
	s_and_b64 vcc, exec, s[4:5]
	v_add_u32_e32 v4, 2, v5
	s_cbranch_vccnz .LBB31_26
; %bb.25:
	v_mad_u64_u32 v[6:7], s[22:23], v4, s14, v[1:2]
	s_cbranch_execz .LBB31_27
	s_branch .LBB31_28
.LBB31_26:
                                        ; implicit-def: $vgpr6
.LBB31_27:
	v_add_u32_e32 v6, 2, v2
.LBB31_28:
	s_and_b64 vcc, exec, s[6:7]
	s_cbranch_vccnz .LBB31_30
; %bb.29:
	v_mad_u64_u32 v[7:8], s[22:23], v4, s15, v[1:2]
	s_cbranch_execz .LBB31_31
	s_branch .LBB31_32
.LBB31_30:
                                        ; implicit-def: $vgpr7
.LBB31_31:
	v_add_u32_e32 v7, 2, v3
.LBB31_32:
	v_mov_b32_e32 v8, 0
	s_and_b64 vcc, exec, s[8:9]
	v_mov_b32_e32 v19, 0
	s_cbranch_vccnz .LBB31_34
; %bb.33:
	v_add_u32_e32 v19, s21, v6
	v_mov_b32_e32 v20, 0
	v_lshlrev_b64 v[19:20], 1, v[19:20]
	v_mov_b32_e32 v4, s19
	v_add_co_u32_e32 v19, vcc, s18, v19
	v_addc_co_u32_e32 v20, vcc, v4, v20, vcc
	global_load_ushort v19, v[19:20], off
.LBB31_34:
	s_and_b64 vcc, exec, s[10:11]
	s_cbranch_vccnz .LBB31_36
; %bb.35:
	v_add_u32_e32 v6, s21, v7
	v_mov_b32_e32 v7, 0
	v_lshlrev_b64 v[6:7], 1, v[6:7]
	v_mov_b32_e32 v4, s25
	v_add_co_u32_e32 v6, vcc, s24, v6
	v_addc_co_u32_e32 v7, vcc, v4, v7, vcc
	global_load_ushort v8, v[6:7], off
.LBB31_36:
	s_and_b64 vcc, exec, s[4:5]
	v_add_u32_e32 v6, 3, v5
	s_cbranch_vccnz .LBB31_38
; %bb.37:
	v_mad_u64_u32 v[4:5], s[4:5], v6, s14, v[1:2]
	s_cbranch_execz .LBB31_39
	s_branch .LBB31_40
.LBB31_38:
                                        ; implicit-def: $vgpr4
.LBB31_39:
	v_add_u32_e32 v4, 3, v2
.LBB31_40:
	s_and_b64 vcc, exec, s[6:7]
	s_cbranch_vccnz .LBB31_42
; %bb.41:
	v_mad_u64_u32 v[5:6], s[4:5], v6, s15, v[1:2]
	s_cbranch_execz .LBB31_43
	s_branch .LBB31_44
.LBB31_42:
                                        ; implicit-def: $vgpr5
.LBB31_43:
	v_add_u32_e32 v5, 3, v3
.LBB31_44:
	v_mov_b32_e32 v3, 0
	s_and_b64 vcc, exec, s[8:9]
	v_mov_b32_e32 v6, 0
	s_cbranch_vccnz .LBB31_46
; %bb.45:
	v_add_u32_e32 v6, s21, v4
	v_mov_b32_e32 v7, 0
	v_lshlrev_b64 v[6:7], 1, v[6:7]
	v_mov_b32_e32 v2, s19
	v_add_co_u32_e32 v6, vcc, s18, v6
	v_addc_co_u32_e32 v7, vcc, v2, v7, vcc
	global_load_ushort v6, v[6:7], off
.LBB31_46:
	s_and_b64 vcc, exec, s[10:11]
	s_cbranch_vccnz .LBB31_48
; %bb.47:
	v_add_u32_e32 v2, s21, v5
	v_mov_b32_e32 v3, 0
	v_lshlrev_b64 v[2:3], 1, v[2:3]
	v_mov_b32_e32 v4, s25
	v_add_co_u32_e32 v2, vcc, s24, v2
	v_addc_co_u32_e32 v3, vcc, v4, v3, vcc
	global_load_ushort v3, v[2:3], off
.LBB31_48:
	s_mov_b32 s4, 0x5040100
	s_waitcnt vmcnt(0)
	v_perm_b32 v4, v17, v15, s4
	v_perm_b32 v2, v18, v16, s4
	v_pk_mul_f16 v4, v14, v4 op_sel_hi:[0,1]
	v_perm_b32 v3, v3, v8, s4
	v_pk_fma_f16 v2, v12, v2, v4 op_sel_hi:[0,1,1]
	v_perm_b32 v4, v6, v19, s4
	v_pk_mul_f16 v3, v14, v3 op_sel_hi:[0,1]
	v_pk_fma_f16 v3, v12, v4, v3 op_sel_hi:[0,1,1]
	v_cmp_ge_u32_e32 vcc, s13, v13
	s_and_saveexec_b64 s[4:5], vcc
	s_xor_b64 s[4:5], exec, s[4:5]
	s_cbranch_execz .LBB31_50
; %bb.49:
	v_mul_lo_u32 v4, v1, s20
	v_mov_b32_e32 v1, 0
	v_mov_b32_e32 v6, s17
                                        ; implicit-def: $vgpr13
                                        ; implicit-def: $vgpr10
                                        ; implicit-def: $vgpr11
	v_add3_u32 v4, v9, s21, v4
	v_sub_u32_e32 v0, v4, v0
	v_lshlrev_b64 v[4:5], 1, v[0:1]
                                        ; implicit-def: $vgpr9
	v_add_co_u32_e32 v4, vcc, s16, v4
	v_addc_co_u32_e32 v5, vcc, v6, v5, vcc
	global_store_short v[4:5], v2, off
	v_add_u32_e32 v4, 1, v0
	v_mov_b32_e32 v5, v1
	v_lshlrev_b64 v[4:5], 1, v[4:5]
	v_add_co_u32_e32 v4, vcc, s16, v4
	v_addc_co_u32_e32 v5, vcc, v6, v5, vcc
	global_store_short_d16_hi v[4:5], v2, off
	v_add_u32_e32 v4, 2, v0
	v_mov_b32_e32 v5, v1
	v_lshlrev_b64 v[4:5], 1, v[4:5]
	v_add_u32_e32 v0, 3, v0
	v_mov_b32_e32 v2, s17
	v_add_co_u32_e32 v4, vcc, s16, v4
	v_lshlrev_b64 v[0:1], 1, v[0:1]
	v_addc_co_u32_e32 v5, vcc, v2, v5, vcc
	v_add_co_u32_e32 v0, vcc, s16, v0
	v_addc_co_u32_e32 v1, vcc, v2, v1, vcc
	global_store_short v[4:5], v3, off
	global_store_short_d16_hi v[0:1], v3, off
                                        ; implicit-def: $vgpr0
                                        ; implicit-def: $vgpr2
.LBB31_50:
	s_andn2_saveexec_b64 s[4:5], s[4:5]
	s_cbranch_execz .LBB31_54
; %bb.51:
	v_cmp_gt_u32_e32 vcc, 4, v0
	s_and_b64 exec, exec, vcc
	s_cbranch_execz .LBB31_54
; %bb.52:
	v_lshl_or_b32 v4, s28, 4, v10
	s_lshl_b32 s4, s30, 4
	v_subrev_u32_e32 v4, s4, v4
	v_mul_lo_u32 v4, s20, v4
	v_min_u32_e32 v1, s13, v13
	v_sub_u32_e32 v1, v9, v1
	v_add_u32_e32 v6, 3, v1
	s_add_i32 s12, s12, s21
	v_mov_b32_e32 v1, 0
	v_add3_u32 v8, s12, v4, v11
	v_mov_b32_e32 v5, v1
	s_mov_b64 s[6:7], 0
	v_mov_b32_e32 v7, s17
	v_mov_b32_e32 v4, v0
	;; [unrolled: 1-line block ×3, first 2 shown]
.LBB31_53:                              ; =>This Inner Loop Header: Depth=1
	v_lshlrev_b32_e32 v10, 4, v4
	v_lshlrev_b64 v[8:9], 1, v[0:1]
	v_add_co_u32_e32 v4, vcc, 1, v4
	v_add_u32_e32 v6, 1, v6
	v_addc_co_u32_e32 v5, vcc, 0, v5, vcc
	v_lshrrev_b64 v[10:11], v10, v[2:3]
	v_cmp_lt_u32_e32 vcc, 2, v6
	v_add_co_u32_e64 v8, s[4:5], s16, v8
	v_add_u32_e32 v0, 1, v0
	v_addc_co_u32_e64 v9, s[4:5], v7, v9, s[4:5]
	s_or_b64 s[6:7], vcc, s[6:7]
	global_store_short v[8:9], v10, off
	s_andn2_b64 exec, exec, s[6:7]
	s_cbranch_execnz .LBB31_53
.LBB31_54:
	s_endpgm
	.section	.rodata,"a",@progbits
	.p2align	6, 0x0
	.amdhsa_kernel Transform_H_H_001_16_16_VW_4
		.amdhsa_group_segment_fixed_size 0
		.amdhsa_private_segment_fixed_size 64
		.amdhsa_kernarg_size 344
		.amdhsa_user_sgpr_count 8
		.amdhsa_user_sgpr_private_segment_buffer 1
		.amdhsa_user_sgpr_dispatch_ptr 0
		.amdhsa_user_sgpr_queue_ptr 0
		.amdhsa_user_sgpr_kernarg_segment_ptr 1
		.amdhsa_user_sgpr_dispatch_id 0
		.amdhsa_user_sgpr_flat_scratch_init 1
		.amdhsa_user_sgpr_private_segment_size 0
		.amdhsa_uses_dynamic_stack 0
		.amdhsa_system_sgpr_private_segment_wavefront_offset 1
		.amdhsa_system_sgpr_workgroup_id_x 1
		.amdhsa_system_sgpr_workgroup_id_y 0
		.amdhsa_system_sgpr_workgroup_id_z 1
		.amdhsa_system_sgpr_workgroup_info 0
		.amdhsa_system_vgpr_workitem_id 0
		.amdhsa_next_free_vgpr 42
		.amdhsa_next_free_sgpr 34
		.amdhsa_reserve_vcc 1
		.amdhsa_reserve_flat_scratch 1
		.amdhsa_float_round_mode_32 0
		.amdhsa_float_round_mode_16_64 0
		.amdhsa_float_denorm_mode_32 3
		.amdhsa_float_denorm_mode_16_64 3
		.amdhsa_dx10_clamp 1
		.amdhsa_ieee_mode 1
		.amdhsa_fp16_overflow 0
		.amdhsa_exception_fp_ieee_invalid_op 0
		.amdhsa_exception_fp_denorm_src 0
		.amdhsa_exception_fp_ieee_div_zero 0
		.amdhsa_exception_fp_ieee_overflow 0
		.amdhsa_exception_fp_ieee_underflow 0
		.amdhsa_exception_fp_ieee_inexact 0
		.amdhsa_exception_int_div_zero 0
	.end_amdhsa_kernel
	.text
.Lfunc_end31:
	.size	Transform_H_H_001_16_16_VW_4, .Lfunc_end31-Transform_H_H_001_16_16_VW_4
                                        ; -- End function
	.set Transform_H_H_001_16_16_VW_4.num_vgpr, max(42, .L__assert_fail.num_vgpr)
	.set Transform_H_H_001_16_16_VW_4.num_agpr, max(0, .L__assert_fail.num_agpr)
	.set Transform_H_H_001_16_16_VW_4.numbered_sgpr, max(33, .L__assert_fail.numbered_sgpr)
	.set Transform_H_H_001_16_16_VW_4.num_named_barrier, max(0, .L__assert_fail.num_named_barrier)
	.set Transform_H_H_001_16_16_VW_4.private_seg_size, 0+max(.L__assert_fail.private_seg_size)
	.set Transform_H_H_001_16_16_VW_4.uses_vcc, or(1, .L__assert_fail.uses_vcc)
	.set Transform_H_H_001_16_16_VW_4.uses_flat_scratch, or(1, .L__assert_fail.uses_flat_scratch)
	.set Transform_H_H_001_16_16_VW_4.has_dyn_sized_stack, or(0, .L__assert_fail.has_dyn_sized_stack)
	.set Transform_H_H_001_16_16_VW_4.has_recursion, or(0, .L__assert_fail.has_recursion)
	.set Transform_H_H_001_16_16_VW_4.has_indirect_call, or(0, .L__assert_fail.has_indirect_call)
	.section	.AMDGPU.csdata,"",@progbits
; Kernel info:
; codeLenInByte = 1612
; TotalNumSgprs: 40
; NumVgprs: 42
; ScratchSize: 64
; MemoryBound: 0
; FloatMode: 240
; IeeeMode: 1
; LDSByteSize: 0 bytes/workgroup (compile time only)
; SGPRBlocks: 4
; VGPRBlocks: 10
; NumSGPRsForWavesPerEU: 40
; NumVGPRsForWavesPerEU: 42
; Occupancy: 5
; WaveLimiterHint : 1
; COMPUTE_PGM_RSRC2:SCRATCH_EN: 1
; COMPUTE_PGM_RSRC2:USER_SGPR: 8
; COMPUTE_PGM_RSRC2:TRAP_HANDLER: 0
; COMPUTE_PGM_RSRC2:TGID_X_EN: 1
; COMPUTE_PGM_RSRC2:TGID_Y_EN: 0
; COMPUTE_PGM_RSRC2:TGID_Z_EN: 1
; COMPUTE_PGM_RSRC2:TIDIG_COMP_CNT: 0
	.text
	.protected	Transform_H_H_000_16_16_VW_1 ; -- Begin function Transform_H_H_000_16_16_VW_1
	.globl	Transform_H_H_000_16_16_VW_1
	.p2align	8
	.type	Transform_H_H_000_16_16_VW_1,@function
Transform_H_H_000_16_16_VW_1:           ; @Transform_H_H_000_16_16_VW_1
; %bb.0:
	s_mov_b64 s[26:27], s[4:5]
	s_load_dword s4, s[4:5], 0x64
	s_add_u32 flat_scratch_lo, s6, s10
	s_addc_u32 flat_scratch_hi, s7, 0
	s_add_u32 s0, s0, s10
	s_addc_u32 s1, s1, 0
	s_waitcnt lgkmcnt(0)
	s_and_b32 s4, s4, 0xffff
	s_mov_b32 s28, s9
	s_mov_b32 s29, s8
	v_mov_b32_e32 v41, v0
	s_cmpk_eq_i32 s4, 0x100
	s_mov_b64 s[4:5], -1
	s_mov_b32 s32, 0
	s_cbranch_scc1 .LBB32_2
; %bb.1:
	s_add_u32 s8, s26, 0x58
	s_addc_u32 s9, s27, 0
	s_getpc_b64 s[4:5]
	s_add_u32 s4, s4, __PRETTY_FUNCTION__._ZN10amd_detail9transformIDF16_DF16_Lb0ELb0ELb0ELj16ELj16ELj1EEEvPT_PKS1_S4_T0_PKS5_S5_S7_jjjjjjbb@rel32@lo+4
	s_addc_u32 s5, s5, __PRETTY_FUNCTION__._ZN10amd_detail9transformIDF16_DF16_Lb0ELb0ELb0ELj16ELj16ELj1EEEvPT_PKS1_S4_T0_PKS5_S5_S7_jjjjjjbb@rel32@hi+12
	s_getpc_b64 s[6:7]
	s_add_u32 s6, s6, __assert_fail@rel32@lo+4
	s_addc_u32 s7, s7, __assert_fail@rel32@hi+12
	v_mov_b32_e32 v0, s4
	v_mov_b32_e32 v1, s5
	s_swappc_b64 s[30:31], s[6:7]
	s_mov_b64 s[4:5], 0
	; divergent unreachable
.LBB32_2:
	s_andn2_b64 vcc, exec, s[4:5]
	s_cbranch_vccnz .LBB32_13
; %bb.3:
	s_load_dwordx8 s[4:11], s[26:27], 0x38
	s_waitcnt lgkmcnt(0)
	s_lshr_b32 s11, s4, 4
	s_and_b32 s12, s4, 15
	s_cmp_lg_u32 s12, 0
	s_cselect_b64 s[12:13], -1, 0
	s_cmp_lg_u64 s[12:13], 0
	s_addc_u32 s11, s11, 0
	v_cvt_f32_u32_e32 v0, s11
	s_load_dword s15, s[26:27], 0x18
	s_load_dwordx2 s[12:13], s[26:27], 0x20
	s_sub_i32 s14, 0, s11
	v_rcp_iflag_f32_e32 v0, v0
	v_mul_f32_e32 v0, 0x4f7ffffe, v0
	v_cvt_u32_f32_e32 v0, v0
	v_readfirstlane_b32 s16, v0
	s_mul_i32 s14, s14, s16
	s_mul_hi_u32 s14, s16, s14
	s_add_i32 s16, s16, s14
	s_mul_hi_u32 s14, s29, s16
	s_waitcnt lgkmcnt(0)
	s_cmp_eq_u64 s[12:13], 0
	v_mov_b32_e32 v0, s15
	s_cbranch_scc1 .LBB32_5
; %bb.4:
	v_mov_b32_e32 v0, 0
	global_load_ushort v0, v0, s[12:13]
.LBB32_5:
	s_load_dwordx2 s[12:13], s[26:27], 0x30
	s_load_dword s15, s[26:27], 0x28
	s_waitcnt lgkmcnt(0)
	s_cmp_eq_u64 s[12:13], 0
	v_mov_b32_e32 v1, s15
	s_cbranch_scc1 .LBB32_7
; %bb.6:
	v_mov_b32_e32 v1, 0
	global_load_ushort v1, v1, s[12:13]
.LBB32_7:
	s_mul_i32 s12, s14, s11
	s_sub_i32 s12, s29, s12
	s_add_i32 s13, s14, 1
	s_sub_i32 s15, s12, s11
	s_cmp_ge_u32 s12, s11
	s_cselect_b32 s13, s13, s14
	s_cselect_b32 s12, s15, s12
	s_add_i32 s14, s13, 1
	s_cmp_ge_u32 s12, s11
	s_cselect_b32 s12, s14, s13
	s_mul_i32 s11, s12, s11
	s_sub_i32 s11, s29, s11
	v_and_b32_e32 v2, 15, v41
	v_lshrrev_b32_e32 v3, 4, v41
	v_lshl_or_b32 v2, s11, 4, v2
	v_lshl_add_u32 v3, s12, 4, v3
	v_cmp_gt_u32_e32 vcc, s4, v2
	v_cmp_gt_u32_e64 s[4:5], s5, v3
	s_and_b64 s[4:5], vcc, s[4:5]
	s_and_saveexec_b64 s[12:13], s[4:5]
	s_cbranch_execz .LBB32_13
; %bb.8:
	s_load_dwordx4 s[12:15], s[26:27], 0x0
	s_load_dwordx2 s[4:5], s[26:27], 0x10
	s_mul_i32 s9, s9, s28
	v_mov_b32_e32 v5, 0
	v_mov_b32_e32 v4, 0
	s_waitcnt lgkmcnt(0)
	s_cmp_eq_u64 s[14:15], 0
	s_cbranch_scc1 .LBB32_10
; %bb.9:
	s_bitcmp1_b32 s10, 0
	s_cselect_b64 vcc, -1, 0
	v_cndmask_b32_e32 v4, v3, v2, vcc
	v_mul_lo_u32 v4, v4, s6
	v_cndmask_b32_e32 v6, v2, v3, vcc
	v_mov_b32_e32 v7, 0
	v_add3_u32 v6, v6, s9, v4
	v_lshlrev_b64 v[6:7], 1, v[6:7]
	v_mov_b32_e32 v4, s15
	v_add_co_u32_e32 v6, vcc, s14, v6
	v_addc_co_u32_e32 v7, vcc, v4, v7, vcc
	global_load_ushort v4, v[6:7], off
.LBB32_10:
	s_cmp_eq_u64 s[4:5], 0
	s_cbranch_scc1 .LBB32_12
; %bb.11:
	s_load_dword s6, s[26:27], 0x50
	v_mov_b32_e32 v6, 0
	v_mov_b32_e32 v7, s5
	s_waitcnt lgkmcnt(0)
	s_bitcmp1_b32 s6, 8
	s_cselect_b64 vcc, -1, 0
	v_cndmask_b32_e32 v5, v3, v2, vcc
	v_mul_lo_u32 v5, v5, s7
	v_cndmask_b32_e32 v8, v2, v3, vcc
	v_add3_u32 v5, v8, s9, v5
	v_lshlrev_b64 v[5:6], 1, v[5:6]
	v_add_co_u32_e32 v5, vcc, s4, v5
	v_addc_co_u32_e32 v6, vcc, v7, v6, vcc
	global_load_ushort v5, v[5:6], off
.LBB32_12:
	v_mul_lo_u32 v3, v3, s8
	s_waitcnt vmcnt(0)
	v_mul_f16_e32 v5, v1, v5
	v_mov_b32_e32 v1, 0
	v_fma_f16 v4, v0, v4, v5
	v_add3_u32 v0, v2, s9, v3
	v_lshlrev_b64 v[0:1], 1, v[0:1]
	v_mov_b32_e32 v2, s13
	v_add_co_u32_e32 v0, vcc, s12, v0
	v_addc_co_u32_e32 v1, vcc, v2, v1, vcc
	global_store_short v[0:1], v4, off
.LBB32_13:
	s_endpgm
	.section	.rodata,"a",@progbits
	.p2align	6, 0x0
	.amdhsa_kernel Transform_H_H_000_16_16_VW_1
		.amdhsa_group_segment_fixed_size 0
		.amdhsa_private_segment_fixed_size 64
		.amdhsa_kernarg_size 344
		.amdhsa_user_sgpr_count 8
		.amdhsa_user_sgpr_private_segment_buffer 1
		.amdhsa_user_sgpr_dispatch_ptr 0
		.amdhsa_user_sgpr_queue_ptr 0
		.amdhsa_user_sgpr_kernarg_segment_ptr 1
		.amdhsa_user_sgpr_dispatch_id 0
		.amdhsa_user_sgpr_flat_scratch_init 1
		.amdhsa_user_sgpr_private_segment_size 0
		.amdhsa_uses_dynamic_stack 0
		.amdhsa_system_sgpr_private_segment_wavefront_offset 1
		.amdhsa_system_sgpr_workgroup_id_x 1
		.amdhsa_system_sgpr_workgroup_id_y 0
		.amdhsa_system_sgpr_workgroup_id_z 1
		.amdhsa_system_sgpr_workgroup_info 0
		.amdhsa_system_vgpr_workitem_id 0
		.amdhsa_next_free_vgpr 42
		.amdhsa_next_free_sgpr 34
		.amdhsa_reserve_vcc 1
		.amdhsa_reserve_flat_scratch 1
		.amdhsa_float_round_mode_32 0
		.amdhsa_float_round_mode_16_64 0
		.amdhsa_float_denorm_mode_32 3
		.amdhsa_float_denorm_mode_16_64 3
		.amdhsa_dx10_clamp 1
		.amdhsa_ieee_mode 1
		.amdhsa_fp16_overflow 0
		.amdhsa_exception_fp_ieee_invalid_op 0
		.amdhsa_exception_fp_denorm_src 0
		.amdhsa_exception_fp_ieee_div_zero 0
		.amdhsa_exception_fp_ieee_overflow 0
		.amdhsa_exception_fp_ieee_underflow 0
		.amdhsa_exception_fp_ieee_inexact 0
		.amdhsa_exception_int_div_zero 0
	.end_amdhsa_kernel
	.text
.Lfunc_end32:
	.size	Transform_H_H_000_16_16_VW_1, .Lfunc_end32-Transform_H_H_000_16_16_VW_1
                                        ; -- End function
	.set Transform_H_H_000_16_16_VW_1.num_vgpr, max(42, .L__assert_fail.num_vgpr)
	.set Transform_H_H_000_16_16_VW_1.num_agpr, max(0, .L__assert_fail.num_agpr)
	.set Transform_H_H_000_16_16_VW_1.numbered_sgpr, max(33, .L__assert_fail.numbered_sgpr)
	.set Transform_H_H_000_16_16_VW_1.num_named_barrier, max(0, .L__assert_fail.num_named_barrier)
	.set Transform_H_H_000_16_16_VW_1.private_seg_size, 0+max(.L__assert_fail.private_seg_size)
	.set Transform_H_H_000_16_16_VW_1.uses_vcc, or(1, .L__assert_fail.uses_vcc)
	.set Transform_H_H_000_16_16_VW_1.uses_flat_scratch, or(1, .L__assert_fail.uses_flat_scratch)
	.set Transform_H_H_000_16_16_VW_1.has_dyn_sized_stack, or(0, .L__assert_fail.has_dyn_sized_stack)
	.set Transform_H_H_000_16_16_VW_1.has_recursion, or(0, .L__assert_fail.has_recursion)
	.set Transform_H_H_000_16_16_VW_1.has_indirect_call, or(0, .L__assert_fail.has_indirect_call)
	.section	.AMDGPU.csdata,"",@progbits
; Kernel info:
; codeLenInByte = 664
; TotalNumSgprs: 40
; NumVgprs: 42
; ScratchSize: 64
; MemoryBound: 0
; FloatMode: 240
; IeeeMode: 1
; LDSByteSize: 0 bytes/workgroup (compile time only)
; SGPRBlocks: 4
; VGPRBlocks: 10
; NumSGPRsForWavesPerEU: 40
; NumVGPRsForWavesPerEU: 42
; Occupancy: 5
; WaveLimiterHint : 1
; COMPUTE_PGM_RSRC2:SCRATCH_EN: 1
; COMPUTE_PGM_RSRC2:USER_SGPR: 8
; COMPUTE_PGM_RSRC2:TRAP_HANDLER: 0
; COMPUTE_PGM_RSRC2:TGID_X_EN: 1
; COMPUTE_PGM_RSRC2:TGID_Y_EN: 0
; COMPUTE_PGM_RSRC2:TGID_Z_EN: 1
; COMPUTE_PGM_RSRC2:TIDIG_COMP_CNT: 0
	.text
	.protected	Transform_H_H_000_16_16_VW_4 ; -- Begin function Transform_H_H_000_16_16_VW_4
	.globl	Transform_H_H_000_16_16_VW_4
	.p2align	8
	.type	Transform_H_H_000_16_16_VW_4,@function
Transform_H_H_000_16_16_VW_4:           ; @Transform_H_H_000_16_16_VW_4
; %bb.0:
	s_mov_b64 s[26:27], s[4:5]
	s_load_dword s4, s[4:5], 0x64
	s_add_u32 flat_scratch_lo, s6, s10
	s_addc_u32 flat_scratch_hi, s7, 0
	s_add_u32 s0, s0, s10
	s_addc_u32 s1, s1, 0
	s_waitcnt lgkmcnt(0)
	s_and_b32 s4, s4, 0xffff
	s_mov_b32 s29, s9
	s_mov_b32 s28, s8
	v_mov_b32_e32 v41, v0
	s_cmpk_eq_i32 s4, 0x100
	s_mov_b64 s[4:5], -1
	s_mov_b32 s32, 0
	s_cbranch_scc1 .LBB33_2
; %bb.1:
	s_add_u32 s8, s26, 0x58
	s_addc_u32 s9, s27, 0
	s_getpc_b64 s[4:5]
	s_add_u32 s4, s4, __PRETTY_FUNCTION__._ZN10amd_detail9transformIDF16_DF16_Lb0ELb0ELb0ELj16ELj16ELj4EEEvPT_PKS1_S4_T0_PKS5_S5_S7_jjjjjjbb@rel32@lo+4
	s_addc_u32 s5, s5, __PRETTY_FUNCTION__._ZN10amd_detail9transformIDF16_DF16_Lb0ELb0ELb0ELj16ELj16ELj4EEEvPT_PKS1_S4_T0_PKS5_S5_S7_jjjjjjbb@rel32@hi+12
	s_getpc_b64 s[6:7]
	s_add_u32 s6, s6, __assert_fail@rel32@lo+4
	s_addc_u32 s7, s7, __assert_fail@rel32@hi+12
	v_mov_b32_e32 v0, s4
	v_mov_b32_e32 v1, s5
	s_swappc_b64 s[30:31], s[6:7]
	s_mov_b64 s[4:5], 0
	; divergent unreachable
.LBB33_2:
	s_andn2_b64 vcc, exec, s[4:5]
	s_cbranch_vccnz .LBB33_54
; %bb.3:
	s_load_dwordx8 s[12:19], s[26:27], 0x38
	s_waitcnt lgkmcnt(0)
	s_lshr_b32 s6, s12, 6
	s_and_b32 s4, s12, 63
	s_cmp_lg_u32 s4, 0
	s_cselect_b64 s[4:5], -1, 0
	s_cmp_lg_u64 s[4:5], 0
	s_addc_u32 s6, s6, 0
	v_cvt_f32_u32_e32 v0, s6
	s_load_dword s8, s[26:27], 0x18
	s_load_dwordx2 s[4:5], s[26:27], 0x20
	s_sub_i32 s7, 0, s6
	v_rcp_iflag_f32_e32 v0, v0
	s_waitcnt lgkmcnt(0)
	v_mov_b32_e32 v6, s8
	v_mul_f32_e32 v0, 0x4f7ffffe, v0
	v_cvt_u32_f32_e32 v0, v0
	v_readfirstlane_b32 s9, v0
	s_mul_i32 s7, s7, s9
	s_mul_hi_u32 s7, s9, s7
	s_add_i32 s9, s9, s7
	s_mul_hi_u32 s7, s28, s9
	s_cmp_eq_u64 s[4:5], 0
	s_cbranch_scc1 .LBB33_5
; %bb.4:
	v_mov_b32_e32 v0, 0
	global_load_ushort v6, v0, s[4:5]
.LBB33_5:
	s_load_dwordx2 s[4:5], s[26:27], 0x30
	s_load_dword s8, s[26:27], 0x28
	s_waitcnt lgkmcnt(0)
	s_cmp_eq_u64 s[4:5], 0
	v_mov_b32_e32 v8, s8
	s_cbranch_scc1 .LBB33_7
; %bb.6:
	v_mov_b32_e32 v0, 0
	global_load_ushort v8, v0, s[4:5]
.LBB33_7:
	s_mul_i32 s4, s7, s6
	s_sub_i32 s4, s28, s4
	s_add_i32 s5, s7, 1
	s_sub_i32 s8, s4, s6
	s_cmp_ge_u32 s4, s6
	s_cselect_b32 s5, s5, s7
	s_cselect_b32 s4, s8, s4
	s_add_i32 s7, s5, 1
	s_cmp_ge_u32 s4, s6
	s_cselect_b32 s30, s7, s5
	v_lshrrev_b32_e32 v0, 4, v41
	v_lshl_add_u32 v0, s30, 4, v0
	v_cmp_gt_u32_e32 vcc, s13, v0
	s_and_saveexec_b64 s[4:5], vcc
	s_cbranch_execz .LBB33_54
; %bb.8:
	s_mul_i32 s30, s30, s6
	v_lshlrev_b32_e32 v1, 2, v41
	s_sub_i32 s4, s28, s30
	v_and_b32_e32 v7, 60, v1
	v_lshl_or_b32 v10, s4, 6, v7
	v_add_u32_e32 v11, 4, v10
	s_load_dwordx4 s[20:23], s[26:27], 0x0
	s_load_dwordx2 s[24:25], s[26:27], 0x10
	v_sub_u32_e64 v9, v11, s12 clamp
	v_sub_u32_e32 v1, v10, v9
	v_mad_u64_u32 v[2:3], s[4:5], v0, s14, v[1:2]
	s_bitcmp1_b32 s18, 0
	s_cselect_b64 vcc, -1, 0
	s_waitcnt lgkmcnt(0)
	s_cmp_lg_u64 s[22:23], 0
	s_mul_i32 s13, s17, s29
	s_cselect_b64 s[10:11], -1, 0
	s_cmp_eq_u64 s[22:23], 0
	v_mov_b32_e32 v12, 0
	v_mov_b32_e32 v13, 0
	s_cbranch_scc1 .LBB33_10
; %bb.9:
	v_mad_u64_u32 v[3:4], s[4:5], v1, s14, v[0:1]
	v_mov_b32_e32 v4, 0
	v_mov_b32_e32 v5, s23
	v_cndmask_b32_e32 v3, v2, v3, vcc
	v_add_u32_e32 v3, s13, v3
	v_lshlrev_b64 v[3:4], 1, v[3:4]
	v_add_co_u32_e64 v3, s[4:5], s22, v3
	v_addc_co_u32_e64 v4, s[4:5], v5, v4, s[4:5]
	global_load_ushort v13, v[3:4], off
.LBB33_10:
	s_load_dword s6, s[26:27], 0x50
	s_xor_b64 s[8:9], vcc, -1
	v_mad_u64_u32 v[3:4], s[4:5], v0, s15, v[1:2]
	v_mul_lo_u32 v14, v1, s15
	s_waitcnt lgkmcnt(0)
	s_bitcmp1_b32 s6, 8
	s_cselect_b64 s[6:7], -1, 0
	s_cmp_lg_u64 s[24:25], 0
	s_cselect_b64 s[18:19], -1, 0
	s_cmp_eq_u64 s[24:25], 0
	s_cbranch_scc1 .LBB33_12
; %bb.11:
	v_add_u32_e32 v4, v14, v0
	v_cndmask_b32_e64 v4, v3, v4, s[6:7]
	v_add_u32_e32 v4, s13, v4
	v_mov_b32_e32 v5, 0
	v_lshlrev_b64 v[4:5], 1, v[4:5]
	v_mov_b32_e32 v12, s25
	v_add_co_u32_e32 v4, vcc, s24, v4
	v_addc_co_u32_e32 v5, vcc, v12, v5, vcc
	global_load_ushort v12, v[4:5], off
.LBB33_12:
	v_cndmask_b32_e64 v4, 0, 1, s[8:9]
	v_cmp_ne_u32_e64 s[4:5], 1, v4
	s_andn2_b64 vcc, exec, s[8:9]
	s_cbranch_vccnz .LBB33_14
; %bb.13:
	v_add_u32_e32 v4, 1, v2
	s_xor_b64 s[8:9], s[6:7], -1
	s_cbranch_execz .LBB33_15
	s_branch .LBB33_16
.LBB33_14:
                                        ; implicit-def: $vgpr4
	s_xor_b64 s[8:9], s[6:7], -1
.LBB33_15:
	v_mul_lo_u32 v4, s14, v1
	v_add3_u32 v4, v4, s14, v0
.LBB33_16:
	v_cndmask_b32_e64 v5, 0, 1, s[8:9]
	v_cmp_ne_u32_e64 s[6:7], 1, v5
	s_andn2_b64 vcc, exec, s[8:9]
	s_cbranch_vccnz .LBB33_18
; %bb.17:
	v_add_u32_e32 v5, 1, v3
	s_cbranch_execz .LBB33_19
	s_branch .LBB33_20
.LBB33_18:
                                        ; implicit-def: $vgpr5
.LBB33_19:
	v_add3_u32 v5, v14, s15, v0
.LBB33_20:
	v_cndmask_b32_e64 v16, 0, 1, s[10:11]
	v_mov_b32_e32 v15, 0
	v_cmp_ne_u32_e64 s[8:9], 1, v16
	s_andn2_b64 vcc, exec, s[10:11]
	v_mov_b32_e32 v16, 0
	s_cbranch_vccnz .LBB33_22
; %bb.21:
	v_add_u32_e32 v16, s13, v4
	v_mov_b32_e32 v17, 0
	v_lshlrev_b64 v[16:17], 1, v[16:17]
	v_mov_b32_e32 v4, s23
	v_add_co_u32_e32 v16, vcc, s22, v16
	v_addc_co_u32_e32 v17, vcc, v4, v17, vcc
	global_load_ushort v16, v[16:17], off
.LBB33_22:
	v_cndmask_b32_e64 v4, 0, 1, s[18:19]
	v_cmp_ne_u32_e64 s[10:11], 1, v4
	s_andn2_b64 vcc, exec, s[18:19]
	s_cbranch_vccnz .LBB33_24
; %bb.23:
	v_add_u32_e32 v4, s13, v5
	v_mov_b32_e32 v5, 0
	v_lshlrev_b64 v[4:5], 1, v[4:5]
	v_mov_b32_e32 v15, s25
	v_add_co_u32_e32 v4, vcc, s24, v4
	v_addc_co_u32_e32 v5, vcc, v15, v5, vcc
	global_load_ushort v15, v[4:5], off
.LBB33_24:
	s_and_b64 vcc, exec, s[4:5]
	s_cbranch_vccnz .LBB33_26
; %bb.25:
	v_add_u32_e32 v4, 2, v2
	s_cbranch_execz .LBB33_27
	s_branch .LBB33_28
.LBB33_26:
                                        ; implicit-def: $vgpr4
.LBB33_27:
	v_add_u32_e32 v4, 2, v1
	v_mad_u64_u32 v[4:5], s[18:19], v4, s14, v[0:1]
.LBB33_28:
	s_and_b64 vcc, exec, s[6:7]
	s_cbranch_vccnz .LBB33_30
; %bb.29:
	v_add_u32_e32 v5, 2, v3
	s_cbranch_execz .LBB33_31
	s_branch .LBB33_32
.LBB33_30:
                                        ; implicit-def: $vgpr5
.LBB33_31:
	s_lshl_b32 s17, s15, 1
	v_add3_u32 v5, v14, s17, v0
.LBB33_32:
	v_mov_b32_e32 v17, 0
	s_and_b64 vcc, exec, s[8:9]
	v_mov_b32_e32 v18, 0
	s_cbranch_vccnz .LBB33_34
; %bb.33:
	v_add_u32_e32 v18, s13, v4
	v_mov_b32_e32 v19, 0
	v_lshlrev_b64 v[18:19], 1, v[18:19]
	v_mov_b32_e32 v4, s23
	v_add_co_u32_e32 v18, vcc, s22, v18
	v_addc_co_u32_e32 v19, vcc, v4, v19, vcc
	global_load_ushort v18, v[18:19], off
.LBB33_34:
	s_and_b64 vcc, exec, s[10:11]
	s_cbranch_vccnz .LBB33_36
; %bb.35:
	v_add_u32_e32 v4, s13, v5
	v_mov_b32_e32 v5, 0
	v_lshlrev_b64 v[4:5], 1, v[4:5]
	v_mov_b32_e32 v17, s25
	v_add_co_u32_e32 v4, vcc, s24, v4
	v_addc_co_u32_e32 v5, vcc, v17, v5, vcc
	global_load_ushort v17, v[4:5], off
.LBB33_36:
	s_and_b64 vcc, exec, s[4:5]
	s_cbranch_vccnz .LBB33_38
; %bb.37:
	v_add_u32_e32 v4, 3, v2
	s_cbranch_execz .LBB33_39
	s_branch .LBB33_40
.LBB33_38:
                                        ; implicit-def: $vgpr4
.LBB33_39:
	v_add_u32_e32 v1, 3, v1
	v_mad_u64_u32 v[4:5], s[4:5], v1, s14, v[0:1]
.LBB33_40:
	s_and_b64 vcc, exec, s[6:7]
	s_cbranch_vccnz .LBB33_42
; %bb.41:
	v_add_u32_e32 v1, 3, v3
	s_cbranch_execz .LBB33_43
	s_branch .LBB33_44
.LBB33_42:
                                        ; implicit-def: $vgpr1
.LBB33_43:
	s_mul_i32 s4, s15, 3
	v_add3_u32 v1, v14, s4, v0
.LBB33_44:
	v_mov_b32_e32 v2, 0
	s_and_b64 vcc, exec, s[8:9]
	v_mov_b32_e32 v3, 0
	s_cbranch_vccnz .LBB33_46
; %bb.45:
	v_add_u32_e32 v3, s13, v4
	v_mov_b32_e32 v4, 0
	v_lshlrev_b64 v[3:4], 1, v[3:4]
	v_mov_b32_e32 v5, s23
	v_add_co_u32_e32 v3, vcc, s22, v3
	v_addc_co_u32_e32 v4, vcc, v5, v4, vcc
	global_load_ushort v3, v[3:4], off
.LBB33_46:
	s_and_b64 vcc, exec, s[10:11]
	s_cbranch_vccnz .LBB33_48
; %bb.47:
	v_add_u32_e32 v1, s13, v1
	v_mov_b32_e32 v2, 0
	v_lshlrev_b64 v[1:2], 1, v[1:2]
	v_mov_b32_e32 v4, s25
	v_add_co_u32_e32 v1, vcc, s24, v1
	v_addc_co_u32_e32 v2, vcc, v4, v2, vcc
	global_load_ushort v2, v[1:2], off
.LBB33_48:
	s_mov_b32 s4, 0x5040100
	s_waitcnt vmcnt(0)
	v_perm_b32 v4, v15, v12, s4
	v_perm_b32 v1, v16, v13, s4
	v_pk_mul_f16 v4, v8, v4 op_sel_hi:[0,1]
	v_pk_fma_f16 v1, v6, v1, v4 op_sel_hi:[0,1,1]
	v_perm_b32 v4, v3, v18, s4
	v_mul_lo_u32 v3, v0, s16
	v_perm_b32 v2, v2, v17, s4
	v_pk_mul_f16 v0, v8, v2 op_sel_hi:[0,1]
	v_pk_fma_f16 v2, v6, v4, v0 op_sel_hi:[0,1,1]
	v_cmp_ge_u32_e32 vcc, s12, v11
	s_and_saveexec_b64 s[4:5], vcc
	s_xor_b64 s[4:5], exec, s[4:5]
	s_cbranch_execz .LBB33_50
; %bb.49:
	v_add_u32_e32 v0, s13, v10
	v_sub_u32_e32 v0, v0, v9
	v_add_u32_e32 v3, v0, v3
	v_mov_b32_e32 v4, 0
	v_lshlrev_b64 v[5:6], 1, v[3:4]
	v_mov_b32_e32 v0, s21
	v_add_co_u32_e32 v5, vcc, s20, v5
	v_addc_co_u32_e32 v6, vcc, v0, v6, vcc
	global_store_short v[5:6], v1, off
	v_add_u32_e32 v5, 1, v3
	v_mov_b32_e32 v6, v4
	v_lshlrev_b64 v[5:6], 1, v[5:6]
                                        ; implicit-def: $vgpr9
                                        ; implicit-def: $vgpr7
	v_add_co_u32_e32 v5, vcc, s20, v5
	v_addc_co_u32_e32 v6, vcc, v0, v6, vcc
	global_store_short_d16_hi v[5:6], v1, off
	v_add_u32_e32 v0, 2, v3
	v_mov_b32_e32 v1, v4
	v_lshlrev_b64 v[0:1], 1, v[0:1]
	v_mov_b32_e32 v5, s21
	v_add_co_u32_e32 v0, vcc, s20, v0
	v_addc_co_u32_e32 v1, vcc, v5, v1, vcc
	v_add_u32_e32 v3, 3, v3
	global_store_short v[0:1], v2, off
	v_lshlrev_b64 v[0:1], 1, v[3:4]
	v_mov_b32_e32 v3, s21
	v_add_co_u32_e32 v0, vcc, s20, v0
	v_addc_co_u32_e32 v1, vcc, v3, v1, vcc
	global_store_short_d16_hi v[0:1], v2, off
                                        ; implicit-def: $vgpr1
                                        ; implicit-def: $vgpr3
.LBB33_50:
	s_andn2_saveexec_b64 s[4:5], s[4:5]
	s_cbranch_execz .LBB33_54
; %bb.51:
	v_cmp_gt_u32_e32 vcc, 4, v9
	s_and_b64 exec, exec, vcc
	s_cbranch_execz .LBB33_54
; %bb.52:
	v_lshl_or_b32 v4, s28, 6, v7
	s_lshl_b32 s4, s30, 6
	v_subrev_u32_e32 v0, s4, v4
	v_add_u32_e32 v5, 4, v0
	v_min_u32_e32 v6, s12, v5
	v_add3_u32 v3, s13, v3, v4
	v_mov_b32_e32 v4, 0
	v_sub_u32_e32 v0, v0, v6
	v_subrev_u32_e32 v8, s4, v3
	v_sub_u32_e32 v3, v5, v6
	v_mov_b32_e32 v6, v4
	v_add_u32_e32 v0, 3, v0
	s_mov_b64 s[6:7], 0
	v_mov_b32_e32 v7, s21
	v_mov_b32_e32 v5, v3
	;; [unrolled: 1-line block ×3, first 2 shown]
.LBB33_53:                              ; =>This Inner Loop Header: Depth=1
	v_lshlrev_b32_e32 v10, 4, v5
	v_lshlrev_b64 v[8:9], 1, v[3:4]
	v_add_co_u32_e32 v5, vcc, 1, v5
	v_add_u32_e32 v0, 1, v0
	v_addc_co_u32_e32 v6, vcc, 0, v6, vcc
	v_lshrrev_b64 v[10:11], v10, v[1:2]
	v_cmp_lt_u32_e32 vcc, 2, v0
	v_add_co_u32_e64 v8, s[4:5], s20, v8
	v_add_u32_e32 v3, 1, v3
	v_addc_co_u32_e64 v9, s[4:5], v7, v9, s[4:5]
	s_or_b64 s[6:7], vcc, s[6:7]
	global_store_short v[8:9], v10, off
	s_andn2_b64 exec, exec, s[6:7]
	s_cbranch_execnz .LBB33_53
.LBB33_54:
	s_endpgm
	.section	.rodata,"a",@progbits
	.p2align	6, 0x0
	.amdhsa_kernel Transform_H_H_000_16_16_VW_4
		.amdhsa_group_segment_fixed_size 0
		.amdhsa_private_segment_fixed_size 64
		.amdhsa_kernarg_size 344
		.amdhsa_user_sgpr_count 8
		.amdhsa_user_sgpr_private_segment_buffer 1
		.amdhsa_user_sgpr_dispatch_ptr 0
		.amdhsa_user_sgpr_queue_ptr 0
		.amdhsa_user_sgpr_kernarg_segment_ptr 1
		.amdhsa_user_sgpr_dispatch_id 0
		.amdhsa_user_sgpr_flat_scratch_init 1
		.amdhsa_user_sgpr_private_segment_size 0
		.amdhsa_uses_dynamic_stack 0
		.amdhsa_system_sgpr_private_segment_wavefront_offset 1
		.amdhsa_system_sgpr_workgroup_id_x 1
		.amdhsa_system_sgpr_workgroup_id_y 0
		.amdhsa_system_sgpr_workgroup_id_z 1
		.amdhsa_system_sgpr_workgroup_info 0
		.amdhsa_system_vgpr_workitem_id 0
		.amdhsa_next_free_vgpr 42
		.amdhsa_next_free_sgpr 34
		.amdhsa_reserve_vcc 1
		.amdhsa_reserve_flat_scratch 1
		.amdhsa_float_round_mode_32 0
		.amdhsa_float_round_mode_16_64 0
		.amdhsa_float_denorm_mode_32 3
		.amdhsa_float_denorm_mode_16_64 3
		.amdhsa_dx10_clamp 1
		.amdhsa_ieee_mode 1
		.amdhsa_fp16_overflow 0
		.amdhsa_exception_fp_ieee_invalid_op 0
		.amdhsa_exception_fp_denorm_src 0
		.amdhsa_exception_fp_ieee_div_zero 0
		.amdhsa_exception_fp_ieee_overflow 0
		.amdhsa_exception_fp_ieee_underflow 0
		.amdhsa_exception_fp_ieee_inexact 0
		.amdhsa_exception_int_div_zero 0
	.end_amdhsa_kernel
	.text
.Lfunc_end33:
	.size	Transform_H_H_000_16_16_VW_4, .Lfunc_end33-Transform_H_H_000_16_16_VW_4
                                        ; -- End function
	.set Transform_H_H_000_16_16_VW_4.num_vgpr, max(42, .L__assert_fail.num_vgpr)
	.set Transform_H_H_000_16_16_VW_4.num_agpr, max(0, .L__assert_fail.num_agpr)
	.set Transform_H_H_000_16_16_VW_4.numbered_sgpr, max(33, .L__assert_fail.numbered_sgpr)
	.set Transform_H_H_000_16_16_VW_4.num_named_barrier, max(0, .L__assert_fail.num_named_barrier)
	.set Transform_H_H_000_16_16_VW_4.private_seg_size, 0+max(.L__assert_fail.private_seg_size)
	.set Transform_H_H_000_16_16_VW_4.uses_vcc, or(1, .L__assert_fail.uses_vcc)
	.set Transform_H_H_000_16_16_VW_4.uses_flat_scratch, or(1, .L__assert_fail.uses_flat_scratch)
	.set Transform_H_H_000_16_16_VW_4.has_dyn_sized_stack, or(0, .L__assert_fail.has_dyn_sized_stack)
	.set Transform_H_H_000_16_16_VW_4.has_recursion, or(0, .L__assert_fail.has_recursion)
	.set Transform_H_H_000_16_16_VW_4.has_indirect_call, or(0, .L__assert_fail.has_indirect_call)
	.section	.AMDGPU.csdata,"",@progbits
; Kernel info:
; codeLenInByte = 1608
; TotalNumSgprs: 40
; NumVgprs: 42
; ScratchSize: 64
; MemoryBound: 0
; FloatMode: 240
; IeeeMode: 1
; LDSByteSize: 0 bytes/workgroup (compile time only)
; SGPRBlocks: 4
; VGPRBlocks: 10
; NumSGPRsForWavesPerEU: 40
; NumVGPRsForWavesPerEU: 42
; Occupancy: 5
; WaveLimiterHint : 1
; COMPUTE_PGM_RSRC2:SCRATCH_EN: 1
; COMPUTE_PGM_RSRC2:USER_SGPR: 8
; COMPUTE_PGM_RSRC2:TRAP_HANDLER: 0
; COMPUTE_PGM_RSRC2:TGID_X_EN: 1
; COMPUTE_PGM_RSRC2:TGID_Y_EN: 0
; COMPUTE_PGM_RSRC2:TGID_Z_EN: 1
; COMPUTE_PGM_RSRC2:TIDIG_COMP_CNT: 0
	.text
	.protected	Transform_H_S_111_16_16_VW_1 ; -- Begin function Transform_H_S_111_16_16_VW_1
	.globl	Transform_H_S_111_16_16_VW_1
	.p2align	8
	.type	Transform_H_S_111_16_16_VW_1,@function
Transform_H_S_111_16_16_VW_1:           ; @Transform_H_S_111_16_16_VW_1
; %bb.0:
	s_mov_b64 s[26:27], s[4:5]
	s_load_dword s4, s[4:5], 0x64
	s_add_u32 flat_scratch_lo, s6, s10
	s_addc_u32 flat_scratch_hi, s7, 0
	s_add_u32 s0, s0, s10
	s_addc_u32 s1, s1, 0
	s_waitcnt lgkmcnt(0)
	s_and_b32 s4, s4, 0xffff
	s_mov_b32 s28, s9
	s_mov_b32 s29, s8
	v_mov_b32_e32 v41, v0
	s_cmpk_eq_i32 s4, 0x100
	s_mov_b64 s[4:5], -1
	s_mov_b32 s32, 0
	s_cbranch_scc1 .LBB34_2
; %bb.1:
	s_add_u32 s8, s26, 0x58
	s_addc_u32 s9, s27, 0
	s_getpc_b64 s[4:5]
	s_add_u32 s4, s4, __PRETTY_FUNCTION__._ZN10amd_detail9transformIDF16_fLb1ELb1ELb1ELj16ELj16ELj1EEEvPT_PKS1_S4_T0_PKS5_S5_S7_jjjjjjbb@rel32@lo+4
	s_addc_u32 s5, s5, __PRETTY_FUNCTION__._ZN10amd_detail9transformIDF16_fLb1ELb1ELb1ELj16ELj16ELj1EEEvPT_PKS1_S4_T0_PKS5_S5_S7_jjjjjjbb@rel32@hi+12
	s_getpc_b64 s[6:7]
	s_add_u32 s6, s6, __assert_fail@rel32@lo+4
	s_addc_u32 s7, s7, __assert_fail@rel32@hi+12
	v_mov_b32_e32 v0, s4
	v_mov_b32_e32 v1, s5
	s_swappc_b64 s[30:31], s[6:7]
	s_mov_b64 s[4:5], 0
	; divergent unreachable
.LBB34_2:
	s_andn2_b64 vcc, exec, s[4:5]
	s_cbranch_vccnz .LBB34_13
; %bb.3:
	s_load_dwordx8 s[4:11], s[26:27], 0x38
	s_waitcnt lgkmcnt(0)
	s_lshr_b32 s11, s4, 4
	s_and_b32 s12, s4, 15
	s_cmp_lg_u32 s12, 0
	s_cselect_b64 s[12:13], -1, 0
	s_cmp_lg_u64 s[12:13], 0
	s_addc_u32 s11, s11, 0
	v_cvt_f32_u32_e32 v0, s11
	s_load_dword s15, s[26:27], 0x18
	s_load_dwordx2 s[12:13], s[26:27], 0x20
	s_sub_i32 s14, 0, s11
	v_rcp_iflag_f32_e32 v0, v0
	v_mul_f32_e32 v0, 0x4f7ffffe, v0
	v_cvt_u32_f32_e32 v0, v0
	v_readfirstlane_b32 s16, v0
	s_mul_i32 s14, s14, s16
	s_mul_hi_u32 s14, s16, s14
	s_add_i32 s16, s16, s14
	s_mul_hi_u32 s14, s29, s16
	s_waitcnt lgkmcnt(0)
	s_cmp_eq_u64 s[12:13], 0
	v_mov_b32_e32 v0, s15
	s_cbranch_scc1 .LBB34_5
; %bb.4:
	v_mov_b32_e32 v0, 0
	global_load_dword v0, v0, s[12:13]
.LBB34_5:
	s_load_dwordx2 s[12:13], s[26:27], 0x30
	s_load_dword s15, s[26:27], 0x28
	s_waitcnt lgkmcnt(0)
	s_cmp_eq_u64 s[12:13], 0
	v_mov_b32_e32 v1, s15
	s_cbranch_scc1 .LBB34_7
; %bb.6:
	v_mov_b32_e32 v1, 0
	global_load_dword v1, v1, s[12:13]
.LBB34_7:
	s_mul_i32 s12, s14, s11
	s_sub_i32 s12, s29, s12
	s_add_i32 s13, s14, 1
	s_sub_i32 s15, s12, s11
	s_cmp_ge_u32 s12, s11
	s_cselect_b32 s13, s13, s14
	s_cselect_b32 s12, s15, s12
	s_add_i32 s14, s13, 1
	s_cmp_ge_u32 s12, s11
	s_cselect_b32 s12, s14, s13
	s_mul_i32 s11, s12, s11
	s_sub_i32 s11, s29, s11
	v_and_b32_e32 v2, 15, v41
	v_lshrrev_b32_e32 v4, 4, v41
	v_lshl_or_b32 v3, s11, 4, v2
	v_lshl_add_u32 v2, s12, 4, v4
	v_cmp_gt_u32_e32 vcc, s4, v3
	v_cmp_gt_u32_e64 s[4:5], s5, v2
	s_and_b64 s[4:5], vcc, s[4:5]
	s_and_saveexec_b64 s[12:13], s[4:5]
	s_cbranch_execz .LBB34_13
; %bb.8:
	s_load_dwordx4 s[12:15], s[26:27], 0x0
	s_load_dwordx2 s[4:5], s[26:27], 0x10
	s_mul_i32 s9, s9, s28
	v_mov_b32_e32 v5, 0
	v_mov_b32_e32 v4, 0
	s_waitcnt lgkmcnt(0)
	s_cmp_eq_u64 s[14:15], 0
	s_cbranch_scc1 .LBB34_10
; %bb.9:
	s_bitcmp1_b32 s10, 0
	s_cselect_b64 vcc, -1, 0
	v_cndmask_b32_e32 v4, v3, v2, vcc
	v_mul_lo_u32 v4, v4, s6
	v_cndmask_b32_e32 v6, v2, v3, vcc
	v_mov_b32_e32 v7, 0
	v_add3_u32 v6, v6, s9, v4
	v_lshlrev_b64 v[6:7], 1, v[6:7]
	v_mov_b32_e32 v4, s15
	v_add_co_u32_e32 v6, vcc, s14, v6
	v_addc_co_u32_e32 v7, vcc, v4, v7, vcc
	global_load_ushort v4, v[6:7], off
	s_waitcnt vmcnt(0)
	v_cvt_f32_f16_e32 v4, v4
.LBB34_10:
	s_cmp_eq_u64 s[4:5], 0
	s_cbranch_scc1 .LBB34_12
; %bb.11:
	s_load_dword s6, s[26:27], 0x50
	v_mov_b32_e32 v6, 0
	v_mov_b32_e32 v7, s5
	s_waitcnt lgkmcnt(0)
	s_bitcmp1_b32 s6, 8
	s_cselect_b64 vcc, -1, 0
	v_cndmask_b32_e32 v5, v3, v2, vcc
	v_mul_lo_u32 v5, v5, s7
	v_cndmask_b32_e32 v8, v2, v3, vcc
	v_add3_u32 v5, v8, s9, v5
	v_lshlrev_b64 v[5:6], 1, v[5:6]
	v_add_co_u32_e32 v5, vcc, s4, v5
	v_addc_co_u32_e32 v6, vcc, v7, v6, vcc
	global_load_ushort v5, v[5:6], off
	s_waitcnt vmcnt(0)
	v_cvt_f32_f16_e32 v5, v5
.LBB34_12:
	v_mul_lo_u32 v3, v3, s8
	s_waitcnt vmcnt(0)
	v_mul_f32_e32 v5, v1, v5
	v_mov_b32_e32 v1, 0
	v_fma_mixlo_f16 v4, v0, v4, v5
	v_add3_u32 v0, v2, s9, v3
	v_lshlrev_b64 v[0:1], 1, v[0:1]
	v_mov_b32_e32 v2, s13
	v_add_co_u32_e32 v0, vcc, s12, v0
	v_addc_co_u32_e32 v1, vcc, v2, v1, vcc
	global_store_short v[0:1], v4, off
.LBB34_13:
	s_endpgm
	.section	.rodata,"a",@progbits
	.p2align	6, 0x0
	.amdhsa_kernel Transform_H_S_111_16_16_VW_1
		.amdhsa_group_segment_fixed_size 0
		.amdhsa_private_segment_fixed_size 64
		.amdhsa_kernarg_size 344
		.amdhsa_user_sgpr_count 8
		.amdhsa_user_sgpr_private_segment_buffer 1
		.amdhsa_user_sgpr_dispatch_ptr 0
		.amdhsa_user_sgpr_queue_ptr 0
		.amdhsa_user_sgpr_kernarg_segment_ptr 1
		.amdhsa_user_sgpr_dispatch_id 0
		.amdhsa_user_sgpr_flat_scratch_init 1
		.amdhsa_user_sgpr_private_segment_size 0
		.amdhsa_uses_dynamic_stack 0
		.amdhsa_system_sgpr_private_segment_wavefront_offset 1
		.amdhsa_system_sgpr_workgroup_id_x 1
		.amdhsa_system_sgpr_workgroup_id_y 0
		.amdhsa_system_sgpr_workgroup_id_z 1
		.amdhsa_system_sgpr_workgroup_info 0
		.amdhsa_system_vgpr_workitem_id 0
		.amdhsa_next_free_vgpr 42
		.amdhsa_next_free_sgpr 34
		.amdhsa_reserve_vcc 1
		.amdhsa_reserve_flat_scratch 1
		.amdhsa_float_round_mode_32 0
		.amdhsa_float_round_mode_16_64 0
		.amdhsa_float_denorm_mode_32 3
		.amdhsa_float_denorm_mode_16_64 3
		.amdhsa_dx10_clamp 1
		.amdhsa_ieee_mode 1
		.amdhsa_fp16_overflow 0
		.amdhsa_exception_fp_ieee_invalid_op 0
		.amdhsa_exception_fp_denorm_src 0
		.amdhsa_exception_fp_ieee_div_zero 0
		.amdhsa_exception_fp_ieee_overflow 0
		.amdhsa_exception_fp_ieee_underflow 0
		.amdhsa_exception_fp_ieee_inexact 0
		.amdhsa_exception_int_div_zero 0
	.end_amdhsa_kernel
	.text
.Lfunc_end34:
	.size	Transform_H_S_111_16_16_VW_1, .Lfunc_end34-Transform_H_S_111_16_16_VW_1
                                        ; -- End function
	.set Transform_H_S_111_16_16_VW_1.num_vgpr, max(42, .L__assert_fail.num_vgpr)
	.set Transform_H_S_111_16_16_VW_1.num_agpr, max(0, .L__assert_fail.num_agpr)
	.set Transform_H_S_111_16_16_VW_1.numbered_sgpr, max(33, .L__assert_fail.numbered_sgpr)
	.set Transform_H_S_111_16_16_VW_1.num_named_barrier, max(0, .L__assert_fail.num_named_barrier)
	.set Transform_H_S_111_16_16_VW_1.private_seg_size, 0+max(.L__assert_fail.private_seg_size)
	.set Transform_H_S_111_16_16_VW_1.uses_vcc, or(1, .L__assert_fail.uses_vcc)
	.set Transform_H_S_111_16_16_VW_1.uses_flat_scratch, or(1, .L__assert_fail.uses_flat_scratch)
	.set Transform_H_S_111_16_16_VW_1.has_dyn_sized_stack, or(0, .L__assert_fail.has_dyn_sized_stack)
	.set Transform_H_S_111_16_16_VW_1.has_recursion, or(0, .L__assert_fail.has_recursion)
	.set Transform_H_S_111_16_16_VW_1.has_indirect_call, or(0, .L__assert_fail.has_indirect_call)
	.section	.AMDGPU.csdata,"",@progbits
; Kernel info:
; codeLenInByte = 680
; TotalNumSgprs: 40
; NumVgprs: 42
; ScratchSize: 64
; MemoryBound: 0
; FloatMode: 240
; IeeeMode: 1
; LDSByteSize: 0 bytes/workgroup (compile time only)
; SGPRBlocks: 4
; VGPRBlocks: 10
; NumSGPRsForWavesPerEU: 40
; NumVGPRsForWavesPerEU: 42
; Occupancy: 5
; WaveLimiterHint : 1
; COMPUTE_PGM_RSRC2:SCRATCH_EN: 1
; COMPUTE_PGM_RSRC2:USER_SGPR: 8
; COMPUTE_PGM_RSRC2:TRAP_HANDLER: 0
; COMPUTE_PGM_RSRC2:TGID_X_EN: 1
; COMPUTE_PGM_RSRC2:TGID_Y_EN: 0
; COMPUTE_PGM_RSRC2:TGID_Z_EN: 1
; COMPUTE_PGM_RSRC2:TIDIG_COMP_CNT: 0
	.text
	.protected	Transform_H_S_111_16_16_VW_4 ; -- Begin function Transform_H_S_111_16_16_VW_4
	.globl	Transform_H_S_111_16_16_VW_4
	.p2align	8
	.type	Transform_H_S_111_16_16_VW_4,@function
Transform_H_S_111_16_16_VW_4:           ; @Transform_H_S_111_16_16_VW_4
; %bb.0:
	s_mov_b64 s[26:27], s[4:5]
	s_load_dword s4, s[4:5], 0x64
	s_add_u32 flat_scratch_lo, s6, s10
	s_addc_u32 flat_scratch_hi, s7, 0
	s_add_u32 s0, s0, s10
	s_addc_u32 s1, s1, 0
	s_waitcnt lgkmcnt(0)
	s_and_b32 s4, s4, 0xffff
	s_mov_b32 s29, s9
	s_mov_b32 s28, s8
	v_mov_b32_e32 v41, v0
	s_cmpk_eq_i32 s4, 0x100
	s_mov_b64 s[4:5], -1
	s_mov_b32 s32, 0
	s_cbranch_scc1 .LBB35_2
; %bb.1:
	s_add_u32 s8, s26, 0x58
	s_addc_u32 s9, s27, 0
	s_getpc_b64 s[4:5]
	s_add_u32 s4, s4, __PRETTY_FUNCTION__._ZN10amd_detail9transformIDF16_fLb1ELb1ELb1ELj16ELj16ELj4EEEvPT_PKS1_S4_T0_PKS5_S5_S7_jjjjjjbb@rel32@lo+4
	s_addc_u32 s5, s5, __PRETTY_FUNCTION__._ZN10amd_detail9transformIDF16_fLb1ELb1ELb1ELj16ELj16ELj4EEEvPT_PKS1_S4_T0_PKS5_S5_S7_jjjjjjbb@rel32@hi+12
	s_getpc_b64 s[6:7]
	s_add_u32 s6, s6, __assert_fail@rel32@lo+4
	s_addc_u32 s7, s7, __assert_fail@rel32@hi+12
	v_mov_b32_e32 v0, s4
	v_mov_b32_e32 v1, s5
	s_swappc_b64 s[30:31], s[6:7]
	s_mov_b64 s[4:5], 0
	; divergent unreachable
.LBB35_2:
	s_andn2_b64 vcc, exec, s[4:5]
	s_cbranch_vccnz .LBB35_54
; %bb.3:
	s_load_dwordx4 s[12:15], s[26:27], 0x38
	s_waitcnt lgkmcnt(0)
	s_lshr_b32 s6, s12, 4
	s_and_b32 s4, s12, 15
	s_cmp_lg_u32 s4, 0
	s_cselect_b64 s[4:5], -1, 0
	s_cmp_lg_u64 s[4:5], 0
	s_addc_u32 s6, s6, 0
	v_cvt_f32_u32_e32 v0, s6
	s_load_dword s8, s[26:27], 0x18
	s_load_dwordx2 s[4:5], s[26:27], 0x20
	s_sub_i32 s7, 0, s6
	v_rcp_iflag_f32_e32 v0, v0
	s_waitcnt lgkmcnt(0)
	v_mov_b32_e32 v11, s8
	v_mul_f32_e32 v0, 0x4f7ffffe, v0
	v_cvt_u32_f32_e32 v0, v0
	v_readfirstlane_b32 s9, v0
	s_mul_i32 s7, s7, s9
	s_mul_hi_u32 s7, s9, s7
	s_add_i32 s9, s9, s7
	s_mul_hi_u32 s7, s28, s9
	s_cmp_eq_u64 s[4:5], 0
	s_cbranch_scc1 .LBB35_5
; %bb.4:
	v_mov_b32_e32 v0, 0
	global_load_dword v11, v0, s[4:5]
.LBB35_5:
	s_load_dwordx2 s[4:5], s[26:27], 0x30
	s_load_dword s8, s[26:27], 0x28
	s_waitcnt lgkmcnt(0)
	s_cmp_eq_u64 s[4:5], 0
	v_mov_b32_e32 v12, s8
	s_cbranch_scc1 .LBB35_7
; %bb.6:
	v_mov_b32_e32 v0, 0
	global_load_dword v12, v0, s[4:5]
.LBB35_7:
	s_mul_i32 s4, s7, s6
	s_sub_i32 s4, s28, s4
	s_add_i32 s5, s7, 1
	s_sub_i32 s8, s4, s6
	s_cmp_ge_u32 s4, s6
	s_cselect_b32 s5, s5, s7
	s_cselect_b32 s4, s8, s4
	s_add_i32 s7, s5, 1
	s_cmp_ge_u32 s4, s6
	s_cselect_b32 s4, s7, s5
	s_mul_i32 s30, s4, s6
	s_sub_i32 s5, s28, s30
	v_and_b32_e32 v7, 15, v41
	v_lshl_or_b32 v1, s5, 4, v7
	v_cmp_gt_u32_e32 vcc, s12, v1
	s_and_saveexec_b64 s[6:7], vcc
	s_cbranch_execz .LBB35_54
; %bb.8:
	v_lshrrev_b32_e32 v0, 2, v41
	s_lshl_b32 s12, s4, 6
	v_and_b32_e32 v9, 0xfc, v0
	s_load_dwordx4 s[20:23], s[26:27], 0x48
	v_add_u32_e32 v8, s12, v9
	v_add_u32_e32 v10, 4, v8
	v_sub_u32_e64 v0, v10, s13 clamp
	s_load_dwordx4 s[16:19], s[26:27], 0x0
	s_load_dwordx2 s[24:25], s[26:27], 0x10
	v_sub_u32_e32 v2, v8, v0
	v_mad_u64_u32 v[3:4], s[4:5], v1, s14, v[2:3]
	s_waitcnt lgkmcnt(0)
	s_bitcmp1_b32 s22, 0
	s_cselect_b64 vcc, -1, 0
	s_cmp_lg_u64 s[18:19], 0
	s_mul_i32 s21, s21, s29
	s_cselect_b64 s[10:11], -1, 0
	s_cmp_eq_u64 s[18:19], 0
	v_mov_b32_e32 v13, 0
	v_mov_b32_e32 v14, 0
	s_cbranch_scc1 .LBB35_10
; %bb.9:
	v_mad_u64_u32 v[4:5], s[4:5], v2, s14, v[1:2]
	v_mov_b32_e32 v5, 0
	v_mov_b32_e32 v6, s19
	v_cndmask_b32_e32 v4, v3, v4, vcc
	v_add_u32_e32 v4, s21, v4
	v_lshlrev_b64 v[4:5], 1, v[4:5]
	v_add_co_u32_e64 v4, s[4:5], s18, v4
	v_addc_co_u32_e64 v5, s[4:5], v6, v5, s[4:5]
	global_load_ushort v4, v[4:5], off
	s_waitcnt vmcnt(0)
	v_cvt_f32_f16_e32 v14, v4
.LBB35_10:
	s_load_dword s6, s[26:27], 0x50
	s_xor_b64 s[8:9], vcc, -1
	v_mad_u64_u32 v[4:5], s[4:5], v1, s15, v[2:3]
	v_mul_lo_u32 v15, v2, s15
	s_waitcnt lgkmcnt(0)
	s_bitcmp1_b32 s6, 8
	s_cselect_b64 s[6:7], -1, 0
	s_cmp_lg_u64 s[24:25], 0
	s_cselect_b64 s[22:23], -1, 0
	s_cmp_eq_u64 s[24:25], 0
	s_cbranch_scc1 .LBB35_12
; %bb.11:
	v_add_u32_e32 v5, v15, v1
	v_cndmask_b32_e64 v5, v4, v5, s[6:7]
	v_add_u32_e32 v5, s21, v5
	v_mov_b32_e32 v6, 0
	v_lshlrev_b64 v[5:6], 1, v[5:6]
	v_mov_b32_e32 v13, s25
	v_add_co_u32_e32 v5, vcc, s24, v5
	v_addc_co_u32_e32 v6, vcc, v13, v6, vcc
	global_load_ushort v5, v[5:6], off
	s_waitcnt vmcnt(0)
	v_cvt_f32_f16_e32 v13, v5
.LBB35_12:
	v_cndmask_b32_e64 v5, 0, 1, s[8:9]
	v_cmp_ne_u32_e64 s[4:5], 1, v5
	s_andn2_b64 vcc, exec, s[8:9]
	s_cbranch_vccnz .LBB35_14
; %bb.13:
	v_add_u32_e32 v5, 1, v3
	s_xor_b64 s[8:9], s[6:7], -1
	s_cbranch_execz .LBB35_15
	s_branch .LBB35_16
.LBB35_14:
                                        ; implicit-def: $vgpr5
	s_xor_b64 s[8:9], s[6:7], -1
.LBB35_15:
	v_mul_lo_u32 v5, s14, v2
	v_add3_u32 v5, v5, s14, v1
.LBB35_16:
	v_cndmask_b32_e64 v6, 0, 1, s[8:9]
	v_cmp_ne_u32_e64 s[6:7], 1, v6
	s_andn2_b64 vcc, exec, s[8:9]
	s_cbranch_vccnz .LBB35_18
; %bb.17:
	v_add_u32_e32 v6, 1, v4
	s_cbranch_execz .LBB35_19
	s_branch .LBB35_20
.LBB35_18:
                                        ; implicit-def: $vgpr6
.LBB35_19:
	v_add3_u32 v6, v15, s15, v1
.LBB35_20:
	v_cndmask_b32_e64 v17, 0, 1, s[10:11]
	v_mov_b32_e32 v16, 0
	v_cmp_ne_u32_e64 s[8:9], 1, v17
	s_andn2_b64 vcc, exec, s[10:11]
	v_mov_b32_e32 v17, 0
	s_cbranch_vccnz .LBB35_22
; %bb.21:
	v_add_u32_e32 v17, s21, v5
	v_mov_b32_e32 v18, 0
	v_lshlrev_b64 v[17:18], 1, v[17:18]
	v_mov_b32_e32 v5, s19
	v_add_co_u32_e32 v17, vcc, s18, v17
	v_addc_co_u32_e32 v18, vcc, v5, v18, vcc
	global_load_ushort v5, v[17:18], off
	s_waitcnt vmcnt(0)
	v_cvt_f32_f16_e32 v17, v5
.LBB35_22:
	v_cndmask_b32_e64 v5, 0, 1, s[22:23]
	v_cmp_ne_u32_e64 s[10:11], 1, v5
	s_andn2_b64 vcc, exec, s[22:23]
	s_cbranch_vccnz .LBB35_24
; %bb.23:
	v_add_u32_e32 v5, s21, v6
	v_mov_b32_e32 v6, 0
	v_lshlrev_b64 v[5:6], 1, v[5:6]
	v_mov_b32_e32 v16, s25
	v_add_co_u32_e32 v5, vcc, s24, v5
	v_addc_co_u32_e32 v6, vcc, v16, v6, vcc
	global_load_ushort v5, v[5:6], off
	s_waitcnt vmcnt(0)
	v_cvt_f32_f16_e32 v16, v5
.LBB35_24:
	s_and_b64 vcc, exec, s[4:5]
	s_cbranch_vccnz .LBB35_26
; %bb.25:
	v_add_u32_e32 v5, 2, v3
	s_cbranch_execz .LBB35_27
	s_branch .LBB35_28
.LBB35_26:
                                        ; implicit-def: $vgpr5
.LBB35_27:
	v_add_u32_e32 v5, 2, v2
	v_mad_u64_u32 v[5:6], s[22:23], v5, s14, v[1:2]
.LBB35_28:
	s_and_b64 vcc, exec, s[6:7]
	s_cbranch_vccnz .LBB35_30
; %bb.29:
	v_add_u32_e32 v6, 2, v4
	s_cbranch_execz .LBB35_31
	s_branch .LBB35_32
.LBB35_30:
                                        ; implicit-def: $vgpr6
.LBB35_31:
	s_lshl_b32 s22, s15, 1
	v_add3_u32 v6, v15, s22, v1
.LBB35_32:
	v_mov_b32_e32 v18, 0
	s_and_b64 vcc, exec, s[8:9]
	v_mov_b32_e32 v19, 0
	s_cbranch_vccnz .LBB35_34
; %bb.33:
	v_add_u32_e32 v19, s21, v5
	v_mov_b32_e32 v20, 0
	v_lshlrev_b64 v[19:20], 1, v[19:20]
	v_mov_b32_e32 v5, s19
	v_add_co_u32_e32 v19, vcc, s18, v19
	v_addc_co_u32_e32 v20, vcc, v5, v20, vcc
	global_load_ushort v5, v[19:20], off
	s_waitcnt vmcnt(0)
	v_cvt_f32_f16_e32 v19, v5
.LBB35_34:
	s_and_b64 vcc, exec, s[10:11]
	s_cbranch_vccnz .LBB35_36
; %bb.35:
	v_add_u32_e32 v5, s21, v6
	v_mov_b32_e32 v6, 0
	v_lshlrev_b64 v[5:6], 1, v[5:6]
	v_mov_b32_e32 v18, s25
	v_add_co_u32_e32 v5, vcc, s24, v5
	v_addc_co_u32_e32 v6, vcc, v18, v6, vcc
	global_load_ushort v5, v[5:6], off
	s_waitcnt vmcnt(0)
	v_cvt_f32_f16_e32 v18, v5
.LBB35_36:
	s_and_b64 vcc, exec, s[4:5]
	s_cbranch_vccnz .LBB35_38
; %bb.37:
	v_add_u32_e32 v5, 3, v3
	s_cbranch_execz .LBB35_39
	s_branch .LBB35_40
.LBB35_38:
                                        ; implicit-def: $vgpr5
.LBB35_39:
	v_add_u32_e32 v2, 3, v2
	v_mad_u64_u32 v[5:6], s[4:5], v2, s14, v[1:2]
.LBB35_40:
	s_and_b64 vcc, exec, s[6:7]
	s_cbranch_vccnz .LBB35_42
; %bb.41:
	v_add_u32_e32 v2, 3, v4
	s_cbranch_execz .LBB35_43
	s_branch .LBB35_44
.LBB35_42:
                                        ; implicit-def: $vgpr2
.LBB35_43:
	s_mul_i32 s4, s15, 3
	v_add3_u32 v2, v15, s4, v1
.LBB35_44:
	v_mov_b32_e32 v6, 0
	s_and_b64 vcc, exec, s[8:9]
	v_mov_b32_e32 v15, 0
	s_cbranch_vccnz .LBB35_46
; %bb.45:
	v_add_u32_e32 v3, s21, v5
	v_mov_b32_e32 v4, 0
	v_lshlrev_b64 v[3:4], 1, v[3:4]
	v_mov_b32_e32 v5, s19
	v_add_co_u32_e32 v3, vcc, s18, v3
	v_addc_co_u32_e32 v4, vcc, v5, v4, vcc
	global_load_ushort v3, v[3:4], off
	s_waitcnt vmcnt(0)
	v_cvt_f32_f16_e32 v15, v3
.LBB35_46:
	s_and_b64 vcc, exec, s[10:11]
	s_cbranch_vccnz .LBB35_48
; %bb.47:
	v_add_u32_e32 v2, s21, v2
	v_mov_b32_e32 v3, 0
	v_lshlrev_b64 v[2:3], 1, v[2:3]
	v_mov_b32_e32 v4, s25
	v_add_co_u32_e32 v2, vcc, s24, v2
	v_addc_co_u32_e32 v3, vcc, v4, v3, vcc
	global_load_ushort v2, v[2:3], off
	s_waitcnt vmcnt(0)
	v_cvt_f32_f16_e32 v6, v2
.LBB35_48:
	s_waitcnt vmcnt(0)
	v_mul_f32_e32 v2, v12, v13
	v_fma_mixlo_f16 v5, v11, v14, v2
	v_mul_f32_e32 v2, v12, v16
	v_fma_mixlo_f16 v4, v11, v17, v2
	;; [unrolled: 2-line block ×4, first 2 shown]
	v_cmp_ge_u32_e32 vcc, s13, v10
	s_and_saveexec_b64 s[4:5], vcc
	s_xor_b64 s[4:5], exec, s[4:5]
	s_cbranch_execz .LBB35_50
; %bb.49:
	v_mul_lo_u32 v6, v1, s20
	v_mov_b32_e32 v1, 0
	v_mov_b32_e32 v9, s17
                                        ; implicit-def: $vgpr10
	v_add3_u32 v6, v8, s21, v6
	v_sub_u32_e32 v0, v6, v0
	v_lshlrev_b64 v[6:7], 1, v[0:1]
                                        ; implicit-def: $vgpr8
	v_add_co_u32_e32 v6, vcc, s16, v6
	v_addc_co_u32_e32 v7, vcc, v9, v7, vcc
	global_store_short v[6:7], v5, off
	v_add_u32_e32 v5, 1, v0
	v_mov_b32_e32 v6, v1
	v_lshlrev_b64 v[5:6], 1, v[5:6]
	v_mov_b32_e32 v7, s17
	v_add_co_u32_e32 v5, vcc, s16, v5
	v_addc_co_u32_e32 v6, vcc, v7, v6, vcc
	global_store_short v[5:6], v4, off
	v_add_u32_e32 v4, 2, v0
	v_mov_b32_e32 v5, v1
	v_lshlrev_b64 v[4:5], 1, v[4:5]
	v_add_u32_e32 v0, 3, v0
	v_mov_b32_e32 v6, s17
	v_add_co_u32_e32 v4, vcc, s16, v4
	v_lshlrev_b64 v[0:1], 1, v[0:1]
	v_addc_co_u32_e32 v5, vcc, v6, v5, vcc
	global_store_short v[4:5], v3, off
	v_mov_b32_e32 v3, s17
	v_add_co_u32_e32 v0, vcc, s16, v0
	v_addc_co_u32_e32 v1, vcc, v3, v1, vcc
	global_store_short v[0:1], v2, off
                                        ; implicit-def: $vgpr7
                                        ; implicit-def: $vgpr9
                                        ; implicit-def: $vgpr0
                                        ; implicit-def: $vgpr5
                                        ; implicit-def: $vgpr4
                                        ; implicit-def: $vgpr3
                                        ; implicit-def: $vgpr2
.LBB35_50:
	s_andn2_saveexec_b64 s[4:5], s[4:5]
	s_cbranch_execz .LBB35_54
; %bb.51:
	v_cmp_gt_u32_e32 vcc, 4, v0
	s_and_b64 exec, exec, vcc
	s_cbranch_execz .LBB35_54
; %bb.52:
	s_mov_b32 s4, 0x5040100
	v_perm_b32 v3, v2, v3, s4
	v_perm_b32 v2, v4, v5, s4
	v_lshl_or_b32 v4, s28, 4, v7
	s_lshl_b32 s4, s30, 4
	v_subrev_u32_e32 v4, s4, v4
	v_mul_lo_u32 v4, s20, v4
	v_min_u32_e32 v1, s13, v10
	v_sub_u32_e32 v1, v8, v1
	v_add_u32_e32 v6, 3, v1
	s_add_i32 s12, s12, s21
	v_mov_b32_e32 v1, 0
	v_add3_u32 v8, s12, v4, v9
	v_mov_b32_e32 v5, v1
	s_mov_b64 s[6:7], 0
	v_mov_b32_e32 v7, s17
	v_mov_b32_e32 v4, v0
	;; [unrolled: 1-line block ×3, first 2 shown]
.LBB35_53:                              ; =>This Inner Loop Header: Depth=1
	v_lshlrev_b32_e32 v10, 4, v4
	v_lshlrev_b64 v[8:9], 1, v[0:1]
	v_add_co_u32_e32 v4, vcc, 1, v4
	v_add_u32_e32 v6, 1, v6
	v_addc_co_u32_e32 v5, vcc, 0, v5, vcc
	v_lshrrev_b64 v[10:11], v10, v[2:3]
	v_cmp_lt_u32_e32 vcc, 2, v6
	v_add_co_u32_e64 v8, s[4:5], s16, v8
	v_add_u32_e32 v0, 1, v0
	v_addc_co_u32_e64 v9, s[4:5], v7, v9, s[4:5]
	s_or_b64 s[6:7], vcc, s[6:7]
	global_store_short v[8:9], v10, off
	s_andn2_b64 exec, exec, s[6:7]
	s_cbranch_execnz .LBB35_53
.LBB35_54:
	s_endpgm
	.section	.rodata,"a",@progbits
	.p2align	6, 0x0
	.amdhsa_kernel Transform_H_S_111_16_16_VW_4
		.amdhsa_group_segment_fixed_size 0
		.amdhsa_private_segment_fixed_size 64
		.amdhsa_kernarg_size 344
		.amdhsa_user_sgpr_count 8
		.amdhsa_user_sgpr_private_segment_buffer 1
		.amdhsa_user_sgpr_dispatch_ptr 0
		.amdhsa_user_sgpr_queue_ptr 0
		.amdhsa_user_sgpr_kernarg_segment_ptr 1
		.amdhsa_user_sgpr_dispatch_id 0
		.amdhsa_user_sgpr_flat_scratch_init 1
		.amdhsa_user_sgpr_private_segment_size 0
		.amdhsa_uses_dynamic_stack 0
		.amdhsa_system_sgpr_private_segment_wavefront_offset 1
		.amdhsa_system_sgpr_workgroup_id_x 1
		.amdhsa_system_sgpr_workgroup_id_y 0
		.amdhsa_system_sgpr_workgroup_id_z 1
		.amdhsa_system_sgpr_workgroup_info 0
		.amdhsa_system_vgpr_workitem_id 0
		.amdhsa_next_free_vgpr 42
		.amdhsa_next_free_sgpr 34
		.amdhsa_reserve_vcc 1
		.amdhsa_reserve_flat_scratch 1
		.amdhsa_float_round_mode_32 0
		.amdhsa_float_round_mode_16_64 0
		.amdhsa_float_denorm_mode_32 3
		.amdhsa_float_denorm_mode_16_64 3
		.amdhsa_dx10_clamp 1
		.amdhsa_ieee_mode 1
		.amdhsa_fp16_overflow 0
		.amdhsa_exception_fp_ieee_invalid_op 0
		.amdhsa_exception_fp_denorm_src 0
		.amdhsa_exception_fp_ieee_div_zero 0
		.amdhsa_exception_fp_ieee_overflow 0
		.amdhsa_exception_fp_ieee_underflow 0
		.amdhsa_exception_fp_ieee_inexact 0
		.amdhsa_exception_int_div_zero 0
	.end_amdhsa_kernel
	.text
.Lfunc_end35:
	.size	Transform_H_S_111_16_16_VW_4, .Lfunc_end35-Transform_H_S_111_16_16_VW_4
                                        ; -- End function
	.set Transform_H_S_111_16_16_VW_4.num_vgpr, max(42, .L__assert_fail.num_vgpr)
	.set Transform_H_S_111_16_16_VW_4.num_agpr, max(0, .L__assert_fail.num_agpr)
	.set Transform_H_S_111_16_16_VW_4.numbered_sgpr, max(33, .L__assert_fail.numbered_sgpr)
	.set Transform_H_S_111_16_16_VW_4.num_named_barrier, max(0, .L__assert_fail.num_named_barrier)
	.set Transform_H_S_111_16_16_VW_4.private_seg_size, 0+max(.L__assert_fail.private_seg_size)
	.set Transform_H_S_111_16_16_VW_4.uses_vcc, or(1, .L__assert_fail.uses_vcc)
	.set Transform_H_S_111_16_16_VW_4.uses_flat_scratch, or(1, .L__assert_fail.uses_flat_scratch)
	.set Transform_H_S_111_16_16_VW_4.has_dyn_sized_stack, or(0, .L__assert_fail.has_dyn_sized_stack)
	.set Transform_H_S_111_16_16_VW_4.has_recursion, or(0, .L__assert_fail.has_recursion)
	.set Transform_H_S_111_16_16_VW_4.has_indirect_call, or(0, .L__assert_fail.has_indirect_call)
	.section	.AMDGPU.csdata,"",@progbits
; Kernel info:
; codeLenInByte = 1688
; TotalNumSgprs: 40
; NumVgprs: 42
; ScratchSize: 64
; MemoryBound: 0
; FloatMode: 240
; IeeeMode: 1
; LDSByteSize: 0 bytes/workgroup (compile time only)
; SGPRBlocks: 4
; VGPRBlocks: 10
; NumSGPRsForWavesPerEU: 40
; NumVGPRsForWavesPerEU: 42
; Occupancy: 5
; WaveLimiterHint : 1
; COMPUTE_PGM_RSRC2:SCRATCH_EN: 1
; COMPUTE_PGM_RSRC2:USER_SGPR: 8
; COMPUTE_PGM_RSRC2:TRAP_HANDLER: 0
; COMPUTE_PGM_RSRC2:TGID_X_EN: 1
; COMPUTE_PGM_RSRC2:TGID_Y_EN: 0
; COMPUTE_PGM_RSRC2:TGID_Z_EN: 1
; COMPUTE_PGM_RSRC2:TIDIG_COMP_CNT: 0
	.text
	.protected	Transform_H_S_110_16_16_VW_1 ; -- Begin function Transform_H_S_110_16_16_VW_1
	.globl	Transform_H_S_110_16_16_VW_1
	.p2align	8
	.type	Transform_H_S_110_16_16_VW_1,@function
Transform_H_S_110_16_16_VW_1:           ; @Transform_H_S_110_16_16_VW_1
; %bb.0:
	s_mov_b64 s[26:27], s[4:5]
	s_load_dword s4, s[4:5], 0x64
	s_add_u32 flat_scratch_lo, s6, s10
	s_addc_u32 flat_scratch_hi, s7, 0
	s_add_u32 s0, s0, s10
	s_addc_u32 s1, s1, 0
	s_waitcnt lgkmcnt(0)
	s_and_b32 s4, s4, 0xffff
	s_mov_b32 s28, s9
	s_mov_b32 s29, s8
	v_mov_b32_e32 v41, v0
	s_cmpk_eq_i32 s4, 0x100
	s_mov_b64 s[4:5], -1
	s_mov_b32 s32, 0
	s_cbranch_scc1 .LBB36_2
; %bb.1:
	s_add_u32 s8, s26, 0x58
	s_addc_u32 s9, s27, 0
	s_getpc_b64 s[4:5]
	s_add_u32 s4, s4, __PRETTY_FUNCTION__._ZN10amd_detail9transformIDF16_fLb1ELb1ELb0ELj16ELj16ELj1EEEvPT_PKS1_S4_T0_PKS5_S5_S7_jjjjjjbb@rel32@lo+4
	s_addc_u32 s5, s5, __PRETTY_FUNCTION__._ZN10amd_detail9transformIDF16_fLb1ELb1ELb0ELj16ELj16ELj1EEEvPT_PKS1_S4_T0_PKS5_S5_S7_jjjjjjbb@rel32@hi+12
	s_getpc_b64 s[6:7]
	s_add_u32 s6, s6, __assert_fail@rel32@lo+4
	s_addc_u32 s7, s7, __assert_fail@rel32@hi+12
	v_mov_b32_e32 v0, s4
	v_mov_b32_e32 v1, s5
	s_swappc_b64 s[30:31], s[6:7]
	s_mov_b64 s[4:5], 0
	; divergent unreachable
.LBB36_2:
	s_andn2_b64 vcc, exec, s[4:5]
	s_cbranch_vccnz .LBB36_13
; %bb.3:
	s_load_dwordx8 s[4:11], s[26:27], 0x38
	s_waitcnt lgkmcnt(0)
	s_lshr_b32 s11, s4, 4
	s_and_b32 s12, s4, 15
	s_cmp_lg_u32 s12, 0
	s_cselect_b64 s[12:13], -1, 0
	s_cmp_lg_u64 s[12:13], 0
	s_addc_u32 s11, s11, 0
	v_cvt_f32_u32_e32 v0, s11
	s_load_dword s15, s[26:27], 0x18
	s_load_dwordx2 s[12:13], s[26:27], 0x20
	s_sub_i32 s14, 0, s11
	v_rcp_iflag_f32_e32 v0, v0
	v_mul_f32_e32 v0, 0x4f7ffffe, v0
	v_cvt_u32_f32_e32 v0, v0
	v_readfirstlane_b32 s16, v0
	s_mul_i32 s14, s14, s16
	s_mul_hi_u32 s14, s16, s14
	s_add_i32 s16, s16, s14
	s_mul_hi_u32 s14, s29, s16
	s_waitcnt lgkmcnt(0)
	s_cmp_eq_u64 s[12:13], 0
	v_mov_b32_e32 v0, s15
	s_cbranch_scc1 .LBB36_5
; %bb.4:
	v_mov_b32_e32 v0, 0
	global_load_dword v0, v0, s[12:13]
.LBB36_5:
	s_load_dwordx2 s[12:13], s[26:27], 0x30
	s_load_dword s15, s[26:27], 0x28
	s_waitcnt lgkmcnt(0)
	s_cmp_eq_u64 s[12:13], 0
	v_mov_b32_e32 v1, s15
	s_cbranch_scc1 .LBB36_7
; %bb.6:
	v_mov_b32_e32 v1, 0
	global_load_dword v1, v1, s[12:13]
.LBB36_7:
	s_mul_i32 s12, s14, s11
	s_sub_i32 s12, s29, s12
	s_add_i32 s13, s14, 1
	s_sub_i32 s15, s12, s11
	s_cmp_ge_u32 s12, s11
	s_cselect_b32 s13, s13, s14
	s_cselect_b32 s12, s15, s12
	s_add_i32 s14, s13, 1
	s_cmp_ge_u32 s12, s11
	s_cselect_b32 s12, s14, s13
	s_mul_i32 s11, s12, s11
	s_sub_i32 s11, s29, s11
	v_and_b32_e32 v2, 15, v41
	v_lshrrev_b32_e32 v3, 4, v41
	v_lshl_or_b32 v2, s11, 4, v2
	v_lshl_add_u32 v3, s12, 4, v3
	v_cmp_gt_u32_e32 vcc, s4, v2
	v_cmp_gt_u32_e64 s[4:5], s5, v3
	s_and_b64 s[4:5], vcc, s[4:5]
	s_and_saveexec_b64 s[12:13], s[4:5]
	s_cbranch_execz .LBB36_13
; %bb.8:
	s_load_dwordx4 s[12:15], s[26:27], 0x0
	s_load_dwordx2 s[4:5], s[26:27], 0x10
	s_mul_i32 s9, s9, s28
	v_mov_b32_e32 v5, 0
	v_mov_b32_e32 v4, 0
	s_waitcnt lgkmcnt(0)
	s_cmp_eq_u64 s[14:15], 0
	s_cbranch_scc1 .LBB36_10
; %bb.9:
	s_bitcmp1_b32 s10, 0
	s_cselect_b64 vcc, -1, 0
	v_cndmask_b32_e32 v4, v2, v3, vcc
	v_mul_lo_u32 v4, v4, s6
	v_cndmask_b32_e32 v6, v3, v2, vcc
	v_mov_b32_e32 v7, 0
	v_add3_u32 v6, v6, s9, v4
	v_lshlrev_b64 v[6:7], 1, v[6:7]
	v_mov_b32_e32 v4, s15
	v_add_co_u32_e32 v6, vcc, s14, v6
	v_addc_co_u32_e32 v7, vcc, v4, v7, vcc
	global_load_ushort v4, v[6:7], off
	s_waitcnt vmcnt(0)
	v_cvt_f32_f16_e32 v4, v4
.LBB36_10:
	s_cmp_eq_u64 s[4:5], 0
	s_cbranch_scc1 .LBB36_12
; %bb.11:
	s_load_dword s6, s[26:27], 0x50
	v_mov_b32_e32 v6, 0
	v_mov_b32_e32 v7, s5
	s_waitcnt lgkmcnt(0)
	s_bitcmp1_b32 s6, 8
	s_cselect_b64 vcc, -1, 0
	v_cndmask_b32_e32 v5, v2, v3, vcc
	v_mul_lo_u32 v5, v5, s7
	v_cndmask_b32_e32 v8, v3, v2, vcc
	v_add3_u32 v5, v8, s9, v5
	v_lshlrev_b64 v[5:6], 1, v[5:6]
	v_add_co_u32_e32 v5, vcc, s4, v5
	v_addc_co_u32_e32 v6, vcc, v7, v6, vcc
	global_load_ushort v5, v[5:6], off
	s_waitcnt vmcnt(0)
	v_cvt_f32_f16_e32 v5, v5
.LBB36_12:
	v_mul_lo_u32 v3, v3, s8
	s_waitcnt vmcnt(0)
	v_mul_f32_e32 v5, v1, v5
	v_mov_b32_e32 v1, 0
	v_fma_mixlo_f16 v4, v0, v4, v5
	v_add3_u32 v0, v2, s9, v3
	v_lshlrev_b64 v[0:1], 1, v[0:1]
	v_mov_b32_e32 v2, s13
	v_add_co_u32_e32 v0, vcc, s12, v0
	v_addc_co_u32_e32 v1, vcc, v2, v1, vcc
	global_store_short v[0:1], v4, off
.LBB36_13:
	s_endpgm
	.section	.rodata,"a",@progbits
	.p2align	6, 0x0
	.amdhsa_kernel Transform_H_S_110_16_16_VW_1
		.amdhsa_group_segment_fixed_size 0
		.amdhsa_private_segment_fixed_size 64
		.amdhsa_kernarg_size 344
		.amdhsa_user_sgpr_count 8
		.amdhsa_user_sgpr_private_segment_buffer 1
		.amdhsa_user_sgpr_dispatch_ptr 0
		.amdhsa_user_sgpr_queue_ptr 0
		.amdhsa_user_sgpr_kernarg_segment_ptr 1
		.amdhsa_user_sgpr_dispatch_id 0
		.amdhsa_user_sgpr_flat_scratch_init 1
		.amdhsa_user_sgpr_private_segment_size 0
		.amdhsa_uses_dynamic_stack 0
		.amdhsa_system_sgpr_private_segment_wavefront_offset 1
		.amdhsa_system_sgpr_workgroup_id_x 1
		.amdhsa_system_sgpr_workgroup_id_y 0
		.amdhsa_system_sgpr_workgroup_id_z 1
		.amdhsa_system_sgpr_workgroup_info 0
		.amdhsa_system_vgpr_workitem_id 0
		.amdhsa_next_free_vgpr 42
		.amdhsa_next_free_sgpr 34
		.amdhsa_reserve_vcc 1
		.amdhsa_reserve_flat_scratch 1
		.amdhsa_float_round_mode_32 0
		.amdhsa_float_round_mode_16_64 0
		.amdhsa_float_denorm_mode_32 3
		.amdhsa_float_denorm_mode_16_64 3
		.amdhsa_dx10_clamp 1
		.amdhsa_ieee_mode 1
		.amdhsa_fp16_overflow 0
		.amdhsa_exception_fp_ieee_invalid_op 0
		.amdhsa_exception_fp_denorm_src 0
		.amdhsa_exception_fp_ieee_div_zero 0
		.amdhsa_exception_fp_ieee_overflow 0
		.amdhsa_exception_fp_ieee_underflow 0
		.amdhsa_exception_fp_ieee_inexact 0
		.amdhsa_exception_int_div_zero 0
	.end_amdhsa_kernel
	.text
.Lfunc_end36:
	.size	Transform_H_S_110_16_16_VW_1, .Lfunc_end36-Transform_H_S_110_16_16_VW_1
                                        ; -- End function
	.set Transform_H_S_110_16_16_VW_1.num_vgpr, max(42, .L__assert_fail.num_vgpr)
	.set Transform_H_S_110_16_16_VW_1.num_agpr, max(0, .L__assert_fail.num_agpr)
	.set Transform_H_S_110_16_16_VW_1.numbered_sgpr, max(33, .L__assert_fail.numbered_sgpr)
	.set Transform_H_S_110_16_16_VW_1.num_named_barrier, max(0, .L__assert_fail.num_named_barrier)
	.set Transform_H_S_110_16_16_VW_1.private_seg_size, 0+max(.L__assert_fail.private_seg_size)
	.set Transform_H_S_110_16_16_VW_1.uses_vcc, or(1, .L__assert_fail.uses_vcc)
	.set Transform_H_S_110_16_16_VW_1.uses_flat_scratch, or(1, .L__assert_fail.uses_flat_scratch)
	.set Transform_H_S_110_16_16_VW_1.has_dyn_sized_stack, or(0, .L__assert_fail.has_dyn_sized_stack)
	.set Transform_H_S_110_16_16_VW_1.has_recursion, or(0, .L__assert_fail.has_recursion)
	.set Transform_H_S_110_16_16_VW_1.has_indirect_call, or(0, .L__assert_fail.has_indirect_call)
	.section	.AMDGPU.csdata,"",@progbits
; Kernel info:
; codeLenInByte = 680
; TotalNumSgprs: 40
; NumVgprs: 42
; ScratchSize: 64
; MemoryBound: 0
; FloatMode: 240
; IeeeMode: 1
; LDSByteSize: 0 bytes/workgroup (compile time only)
; SGPRBlocks: 4
; VGPRBlocks: 10
; NumSGPRsForWavesPerEU: 40
; NumVGPRsForWavesPerEU: 42
; Occupancy: 5
; WaveLimiterHint : 1
; COMPUTE_PGM_RSRC2:SCRATCH_EN: 1
; COMPUTE_PGM_RSRC2:USER_SGPR: 8
; COMPUTE_PGM_RSRC2:TRAP_HANDLER: 0
; COMPUTE_PGM_RSRC2:TGID_X_EN: 1
; COMPUTE_PGM_RSRC2:TGID_Y_EN: 0
; COMPUTE_PGM_RSRC2:TGID_Z_EN: 1
; COMPUTE_PGM_RSRC2:TIDIG_COMP_CNT: 0
	.text
	.protected	Transform_H_S_110_16_16_VW_4 ; -- Begin function Transform_H_S_110_16_16_VW_4
	.globl	Transform_H_S_110_16_16_VW_4
	.p2align	8
	.type	Transform_H_S_110_16_16_VW_4,@function
Transform_H_S_110_16_16_VW_4:           ; @Transform_H_S_110_16_16_VW_4
; %bb.0:
	s_mov_b64 s[26:27], s[4:5]
	s_load_dword s4, s[4:5], 0x64
	s_add_u32 flat_scratch_lo, s6, s10
	s_addc_u32 flat_scratch_hi, s7, 0
	s_add_u32 s0, s0, s10
	s_addc_u32 s1, s1, 0
	s_waitcnt lgkmcnt(0)
	s_and_b32 s4, s4, 0xffff
	s_mov_b32 s29, s9
	s_mov_b32 s28, s8
	v_mov_b32_e32 v41, v0
	s_cmpk_eq_i32 s4, 0x100
	s_mov_b64 s[4:5], -1
	s_mov_b32 s32, 0
	s_cbranch_scc1 .LBB37_2
; %bb.1:
	s_add_u32 s8, s26, 0x58
	s_addc_u32 s9, s27, 0
	s_getpc_b64 s[4:5]
	s_add_u32 s4, s4, __PRETTY_FUNCTION__._ZN10amd_detail9transformIDF16_fLb1ELb1ELb0ELj16ELj16ELj4EEEvPT_PKS1_S4_T0_PKS5_S5_S7_jjjjjjbb@rel32@lo+4
	s_addc_u32 s5, s5, __PRETTY_FUNCTION__._ZN10amd_detail9transformIDF16_fLb1ELb1ELb0ELj16ELj16ELj4EEEvPT_PKS1_S4_T0_PKS5_S5_S7_jjjjjjbb@rel32@hi+12
	s_getpc_b64 s[6:7]
	s_add_u32 s6, s6, __assert_fail@rel32@lo+4
	s_addc_u32 s7, s7, __assert_fail@rel32@hi+12
	v_mov_b32_e32 v0, s4
	v_mov_b32_e32 v1, s5
	s_swappc_b64 s[30:31], s[6:7]
	s_mov_b64 s[4:5], 0
	; divergent unreachable
.LBB37_2:
	s_andn2_b64 vcc, exec, s[4:5]
	s_cbranch_vccnz .LBB37_54
; %bb.3:
	s_load_dwordx8 s[12:19], s[26:27], 0x38
	s_waitcnt lgkmcnt(0)
	s_lshr_b32 s6, s12, 6
	s_and_b32 s4, s12, 63
	s_cmp_lg_u32 s4, 0
	s_cselect_b64 s[4:5], -1, 0
	s_cmp_lg_u64 s[4:5], 0
	s_addc_u32 s6, s6, 0
	v_cvt_f32_u32_e32 v0, s6
	s_load_dword s8, s[26:27], 0x18
	s_load_dwordx2 s[4:5], s[26:27], 0x20
	s_sub_i32 s7, 0, s6
	v_rcp_iflag_f32_e32 v0, v0
	s_waitcnt lgkmcnt(0)
	v_mov_b32_e32 v8, s8
	v_mul_f32_e32 v0, 0x4f7ffffe, v0
	v_cvt_u32_f32_e32 v0, v0
	v_readfirstlane_b32 s9, v0
	s_mul_i32 s7, s7, s9
	s_mul_hi_u32 s7, s9, s7
	s_add_i32 s9, s9, s7
	s_mul_hi_u32 s7, s28, s9
	s_cmp_eq_u64 s[4:5], 0
	s_cbranch_scc1 .LBB37_5
; %bb.4:
	v_mov_b32_e32 v0, 0
	global_load_dword v8, v0, s[4:5]
.LBB37_5:
	s_load_dwordx2 s[4:5], s[26:27], 0x30
	s_load_dword s8, s[26:27], 0x28
	s_waitcnt lgkmcnt(0)
	s_cmp_eq_u64 s[4:5], 0
	v_mov_b32_e32 v11, s8
	s_cbranch_scc1 .LBB37_7
; %bb.6:
	v_mov_b32_e32 v0, 0
	global_load_dword v11, v0, s[4:5]
.LBB37_7:
	s_mul_i32 s4, s7, s6
	s_sub_i32 s4, s28, s4
	s_add_i32 s5, s7, 1
	s_sub_i32 s8, s4, s6
	s_cmp_ge_u32 s4, s6
	s_cselect_b32 s5, s5, s7
	s_cselect_b32 s4, s8, s4
	s_add_i32 s7, s5, 1
	s_cmp_ge_u32 s4, s6
	s_cselect_b32 s30, s7, s5
	v_lshrrev_b32_e32 v0, 4, v41
	v_lshl_add_u32 v0, s30, 4, v0
	v_cmp_gt_u32_e32 vcc, s13, v0
	s_and_saveexec_b64 s[4:5], vcc
	s_cbranch_execz .LBB37_54
; %bb.8:
	s_mul_i32 s30, s30, s6
	v_lshlrev_b32_e32 v1, 2, v41
	s_sub_i32 s4, s28, s30
	v_and_b32_e32 v9, 60, v1
	v_lshl_or_b32 v12, s4, 6, v9
	v_add_u32_e32 v13, 4, v12
	s_load_dwordx4 s[20:23], s[26:27], 0x0
	s_load_dwordx2 s[24:25], s[26:27], 0x10
	v_sub_u32_e64 v10, v13, s12 clamp
	v_sub_u32_e32 v4, v12, v10
	v_mad_u64_u32 v[1:2], s[4:5], v0, s14, v[4:5]
	s_bitcmp1_b32 s18, 0
	s_cselect_b64 vcc, -1, 0
	s_waitcnt lgkmcnt(0)
	s_cmp_lg_u64 s[22:23], 0
	s_mul_i32 s13, s17, s29
	s_cselect_b64 s[10:11], -1, 0
	s_cmp_eq_u64 s[22:23], 0
	v_mov_b32_e32 v15, 0
	v_mov_b32_e32 v14, 0
	s_cbranch_scc1 .LBB37_10
; %bb.9:
	v_mad_u64_u32 v[2:3], s[4:5], v4, s14, v[0:1]
	v_mov_b32_e32 v3, 0
	v_mov_b32_e32 v5, s23
	v_cndmask_b32_e32 v2, v2, v1, vcc
	v_add_u32_e32 v2, s13, v2
	v_lshlrev_b64 v[2:3], 1, v[2:3]
	v_add_co_u32_e64 v2, s[4:5], s22, v2
	v_addc_co_u32_e64 v3, s[4:5], v5, v3, s[4:5]
	global_load_ushort v2, v[2:3], off
	s_waitcnt vmcnt(0)
	v_cvt_f32_f16_e32 v14, v2
.LBB37_10:
	s_load_dword s6, s[26:27], 0x50
	s_xor_b64 s[8:9], vcc, -1
	v_mad_u64_u32 v[2:3], s[4:5], v0, s15, v[4:5]
	s_waitcnt lgkmcnt(0)
	s_bitcmp1_b32 s6, 8
	s_cselect_b64 s[6:7], -1, 0
	s_cmp_lg_u64 s[24:25], 0
	s_cselect_b64 s[18:19], -1, 0
	s_cmp_eq_u64 s[24:25], 0
	s_cbranch_scc1 .LBB37_12
; %bb.11:
	v_mad_u64_u32 v[5:6], s[4:5], v4, s15, v[0:1]
	v_mov_b32_e32 v6, 0
	v_mov_b32_e32 v3, s25
	v_cndmask_b32_e64 v5, v5, v2, s[6:7]
	v_add_u32_e32 v5, s13, v5
	v_lshlrev_b64 v[5:6], 1, v[5:6]
	v_add_co_u32_e32 v5, vcc, s24, v5
	v_addc_co_u32_e32 v6, vcc, v3, v6, vcc
	global_load_ushort v3, v[5:6], off
	s_waitcnt vmcnt(0)
	v_cvt_f32_f16_e32 v15, v3
.LBB37_12:
	v_cndmask_b32_e64 v3, 0, 1, s[8:9]
	v_cmp_ne_u32_e64 s[4:5], 1, v3
	s_andn2_b64 vcc, exec, s[8:9]
	s_cbranch_vccnz .LBB37_14
; %bb.13:
	v_mul_lo_u32 v3, s14, v4
	v_add3_u32 v3, v3, s14, v0
	s_xor_b64 s[8:9], s[6:7], -1
	s_cbranch_execz .LBB37_15
	s_branch .LBB37_16
.LBB37_14:
                                        ; implicit-def: $vgpr3
	s_xor_b64 s[8:9], s[6:7], -1
.LBB37_15:
	v_add_u32_e32 v3, 1, v1
.LBB37_16:
	v_cndmask_b32_e64 v5, 0, 1, s[8:9]
	v_cmp_ne_u32_e64 s[6:7], 1, v5
	s_andn2_b64 vcc, exec, s[8:9]
	s_cbranch_vccnz .LBB37_18
; %bb.17:
	v_mul_lo_u32 v5, s15, v4
	v_add3_u32 v5, v5, s15, v0
	s_cbranch_execz .LBB37_19
	s_branch .LBB37_20
.LBB37_18:
                                        ; implicit-def: $vgpr5
.LBB37_19:
	v_add_u32_e32 v5, 1, v2
.LBB37_20:
	v_cndmask_b32_e64 v6, 0, 1, s[10:11]
	v_mov_b32_e32 v16, 0
	v_cmp_ne_u32_e64 s[8:9], 1, v6
	s_andn2_b64 vcc, exec, s[10:11]
	v_mov_b32_e32 v17, 0
	s_cbranch_vccnz .LBB37_22
; %bb.21:
	v_add_u32_e32 v6, s13, v3
	v_mov_b32_e32 v7, 0
	v_lshlrev_b64 v[6:7], 1, v[6:7]
	v_mov_b32_e32 v3, s23
	v_add_co_u32_e32 v6, vcc, s22, v6
	v_addc_co_u32_e32 v7, vcc, v3, v7, vcc
	global_load_ushort v3, v[6:7], off
	s_waitcnt vmcnt(0)
	v_cvt_f32_f16_e32 v17, v3
.LBB37_22:
	v_cndmask_b32_e64 v3, 0, 1, s[18:19]
	v_cmp_ne_u32_e64 s[10:11], 1, v3
	s_andn2_b64 vcc, exec, s[18:19]
	s_cbranch_vccnz .LBB37_24
; %bb.23:
	v_add_u32_e32 v5, s13, v5
	v_mov_b32_e32 v6, 0
	v_lshlrev_b64 v[5:6], 1, v[5:6]
	v_mov_b32_e32 v3, s25
	v_add_co_u32_e32 v5, vcc, s24, v5
	v_addc_co_u32_e32 v6, vcc, v3, v6, vcc
	global_load_ushort v3, v[5:6], off
	s_waitcnt vmcnt(0)
	v_cvt_f32_f16_e32 v16, v3
.LBB37_24:
	s_and_b64 vcc, exec, s[4:5]
	v_add_u32_e32 v3, 2, v4
	s_cbranch_vccnz .LBB37_26
; %bb.25:
	v_mad_u64_u32 v[5:6], s[18:19], v3, s14, v[0:1]
	s_cbranch_execz .LBB37_27
	s_branch .LBB37_28
.LBB37_26:
                                        ; implicit-def: $vgpr5
.LBB37_27:
	v_add_u32_e32 v5, 2, v1
.LBB37_28:
	s_and_b64 vcc, exec, s[6:7]
	s_cbranch_vccnz .LBB37_30
; %bb.29:
	v_mad_u64_u32 v[6:7], s[18:19], v3, s15, v[0:1]
	s_cbranch_execz .LBB37_31
	s_branch .LBB37_32
.LBB37_30:
                                        ; implicit-def: $vgpr6
.LBB37_31:
	v_add_u32_e32 v6, 2, v2
.LBB37_32:
	v_mov_b32_e32 v7, 0
	s_and_b64 vcc, exec, s[8:9]
	v_mov_b32_e32 v18, 0
	s_cbranch_vccnz .LBB37_34
; %bb.33:
	v_add_u32_e32 v18, s13, v5
	v_mov_b32_e32 v19, 0
	v_lshlrev_b64 v[18:19], 1, v[18:19]
	v_mov_b32_e32 v3, s23
	v_add_co_u32_e32 v18, vcc, s22, v18
	v_addc_co_u32_e32 v19, vcc, v3, v19, vcc
	global_load_ushort v3, v[18:19], off
	s_waitcnt vmcnt(0)
	v_cvt_f32_f16_e32 v18, v3
.LBB37_34:
	s_and_b64 vcc, exec, s[10:11]
	s_cbranch_vccnz .LBB37_36
; %bb.35:
	v_add_u32_e32 v5, s13, v6
	v_mov_b32_e32 v6, 0
	v_lshlrev_b64 v[5:6], 1, v[5:6]
	v_mov_b32_e32 v3, s25
	v_add_co_u32_e32 v5, vcc, s24, v5
	v_addc_co_u32_e32 v6, vcc, v3, v6, vcc
	global_load_ushort v3, v[5:6], off
	s_waitcnt vmcnt(0)
	v_cvt_f32_f16_e32 v7, v3
.LBB37_36:
	s_and_b64 vcc, exec, s[4:5]
	v_add_u32_e32 v5, 3, v4
	s_cbranch_vccnz .LBB37_38
; %bb.37:
	v_mad_u64_u32 v[3:4], s[4:5], v5, s14, v[0:1]
	s_cbranch_execz .LBB37_39
	s_branch .LBB37_40
.LBB37_38:
                                        ; implicit-def: $vgpr3
.LBB37_39:
	v_add_u32_e32 v3, 3, v1
.LBB37_40:
	s_and_b64 vcc, exec, s[6:7]
	s_cbranch_vccnz .LBB37_42
; %bb.41:
	v_mad_u64_u32 v[4:5], s[4:5], v5, s15, v[0:1]
	s_cbranch_execz .LBB37_43
	s_branch .LBB37_44
.LBB37_42:
                                        ; implicit-def: $vgpr4
.LBB37_43:
	v_add_u32_e32 v4, 3, v2
.LBB37_44:
	v_mov_b32_e32 v5, 0
	s_and_b64 vcc, exec, s[8:9]
	v_mov_b32_e32 v6, 0
	s_cbranch_vccnz .LBB37_46
; %bb.45:
	v_add_u32_e32 v1, s13, v3
	v_mov_b32_e32 v2, 0
	v_lshlrev_b64 v[1:2], 1, v[1:2]
	v_mov_b32_e32 v3, s23
	v_add_co_u32_e32 v1, vcc, s22, v1
	v_addc_co_u32_e32 v2, vcc, v3, v2, vcc
	global_load_ushort v1, v[1:2], off
	s_waitcnt vmcnt(0)
	v_cvt_f32_f16_e32 v6, v1
.LBB37_46:
	s_and_b64 vcc, exec, s[10:11]
	s_cbranch_vccnz .LBB37_48
; %bb.47:
	v_add_u32_e32 v1, s13, v4
	v_mov_b32_e32 v2, 0
	v_lshlrev_b64 v[1:2], 1, v[1:2]
	v_mov_b32_e32 v3, s25
	v_add_co_u32_e32 v1, vcc, s24, v1
	v_addc_co_u32_e32 v2, vcc, v3, v2, vcc
	global_load_ushort v1, v[1:2], off
	s_waitcnt vmcnt(0)
	v_cvt_f32_f16_e32 v5, v1
.LBB37_48:
	s_waitcnt vmcnt(0)
	v_mul_f32_e32 v1, v11, v15
	v_mul_lo_u32 v4, v0, s16
	v_fma_mixlo_f16 v3, v8, v14, v1
	v_mul_f32_e32 v1, v11, v16
	v_fma_mixlo_f16 v2, v8, v17, v1
	v_mul_f32_e32 v1, v11, v7
	v_mul_f32_e32 v0, v11, v5
	v_fma_mixlo_f16 v1, v8, v18, v1
	v_fma_mixlo_f16 v0, v8, v6, v0
	v_cmp_ge_u32_e32 vcc, s12, v13
	s_and_saveexec_b64 s[4:5], vcc
	s_xor_b64 s[4:5], exec, s[4:5]
	s_cbranch_execz .LBB37_50
; %bb.49:
	v_add_u32_e32 v5, s13, v12
	v_sub_u32_e32 v5, v5, v10
	v_add_u32_e32 v4, v5, v4
	v_mov_b32_e32 v5, 0
	v_lshlrev_b64 v[6:7], 1, v[4:5]
	v_mov_b32_e32 v8, s21
	v_add_co_u32_e32 v6, vcc, s20, v6
	v_addc_co_u32_e32 v7, vcc, v8, v7, vcc
	global_store_short v[6:7], v3, off
	v_add_u32_e32 v6, 1, v4
	v_mov_b32_e32 v7, v5
	v_lshlrev_b64 v[6:7], 1, v[6:7]
	v_mov_b32_e32 v3, s21
	v_add_co_u32_e32 v6, vcc, s20, v6
	v_addc_co_u32_e32 v7, vcc, v3, v7, vcc
	global_store_short v[6:7], v2, off
	v_add_u32_e32 v2, 2, v4
	v_mov_b32_e32 v3, v5
	v_lshlrev_b64 v[2:3], 1, v[2:3]
	v_mov_b32_e32 v6, s21
	v_add_co_u32_e32 v2, vcc, s20, v2
	v_addc_co_u32_e32 v3, vcc, v6, v3, vcc
	v_add_u32_e32 v4, 3, v4
	global_store_short v[2:3], v1, off
	v_lshlrev_b64 v[1:2], 1, v[4:5]
	v_mov_b32_e32 v3, s21
	v_add_co_u32_e32 v1, vcc, s20, v1
	v_addc_co_u32_e32 v2, vcc, v3, v2, vcc
	global_store_short v[1:2], v0, off
                                        ; implicit-def: $vgpr10
                                        ; implicit-def: $vgpr0
                                        ; implicit-def: $vgpr1
                                        ; implicit-def: $vgpr2
                                        ; implicit-def: $vgpr3
                                        ; implicit-def: $vgpr9
                                        ; implicit-def: $vgpr4
.LBB37_50:
	s_andn2_saveexec_b64 s[4:5], s[4:5]
	s_cbranch_execz .LBB37_54
; %bb.51:
	v_cmp_gt_u32_e32 vcc, 4, v10
	s_and_b64 exec, exec, vcc
	s_cbranch_execz .LBB37_54
; %bb.52:
	s_mov_b32 s4, 0x5040100
	v_perm_b32 v1, v0, v1, s4
	v_perm_b32 v0, v2, v3, s4
	v_lshl_or_b32 v2, s28, 6, v9
	s_lshl_b32 s4, s30, 6
	v_subrev_u32_e32 v3, s4, v2
	v_add_u32_e32 v5, 4, v3
	v_min_u32_e32 v7, s12, v5
	v_sub_u32_e32 v3, v3, v7
	v_add_u32_e32 v6, 3, v3
	v_add3_u32 v2, s13, v4, v2
	v_mov_b32_e32 v3, 0
	v_subrev_u32_e32 v8, s4, v2
	v_sub_u32_e32 v2, v5, v7
	v_mov_b32_e32 v5, v3
	s_mov_b64 s[6:7], 0
	v_mov_b32_e32 v7, s21
	v_mov_b32_e32 v4, v2
	;; [unrolled: 1-line block ×3, first 2 shown]
.LBB37_53:                              ; =>This Inner Loop Header: Depth=1
	v_lshlrev_b32_e32 v10, 4, v4
	v_lshlrev_b64 v[8:9], 1, v[2:3]
	v_add_co_u32_e32 v4, vcc, 1, v4
	v_add_u32_e32 v6, 1, v6
	v_addc_co_u32_e32 v5, vcc, 0, v5, vcc
	v_lshrrev_b64 v[10:11], v10, v[0:1]
	v_cmp_lt_u32_e32 vcc, 2, v6
	v_add_co_u32_e64 v8, s[4:5], s20, v8
	v_add_u32_e32 v2, 1, v2
	v_addc_co_u32_e64 v9, s[4:5], v7, v9, s[4:5]
	s_or_b64 s[6:7], vcc, s[6:7]
	global_store_short v[8:9], v10, off
	s_andn2_b64 exec, exec, s[6:7]
	s_cbranch_execnz .LBB37_53
.LBB37_54:
	s_endpgm
	.section	.rodata,"a",@progbits
	.p2align	6, 0x0
	.amdhsa_kernel Transform_H_S_110_16_16_VW_4
		.amdhsa_group_segment_fixed_size 0
		.amdhsa_private_segment_fixed_size 64
		.amdhsa_kernarg_size 344
		.amdhsa_user_sgpr_count 8
		.amdhsa_user_sgpr_private_segment_buffer 1
		.amdhsa_user_sgpr_dispatch_ptr 0
		.amdhsa_user_sgpr_queue_ptr 0
		.amdhsa_user_sgpr_kernarg_segment_ptr 1
		.amdhsa_user_sgpr_dispatch_id 0
		.amdhsa_user_sgpr_flat_scratch_init 1
		.amdhsa_user_sgpr_private_segment_size 0
		.amdhsa_uses_dynamic_stack 0
		.amdhsa_system_sgpr_private_segment_wavefront_offset 1
		.amdhsa_system_sgpr_workgroup_id_x 1
		.amdhsa_system_sgpr_workgroup_id_y 0
		.amdhsa_system_sgpr_workgroup_id_z 1
		.amdhsa_system_sgpr_workgroup_info 0
		.amdhsa_system_vgpr_workitem_id 0
		.amdhsa_next_free_vgpr 42
		.amdhsa_next_free_sgpr 34
		.amdhsa_reserve_vcc 1
		.amdhsa_reserve_flat_scratch 1
		.amdhsa_float_round_mode_32 0
		.amdhsa_float_round_mode_16_64 0
		.amdhsa_float_denorm_mode_32 3
		.amdhsa_float_denorm_mode_16_64 3
		.amdhsa_dx10_clamp 1
		.amdhsa_ieee_mode 1
		.amdhsa_fp16_overflow 0
		.amdhsa_exception_fp_ieee_invalid_op 0
		.amdhsa_exception_fp_denorm_src 0
		.amdhsa_exception_fp_ieee_div_zero 0
		.amdhsa_exception_fp_ieee_overflow 0
		.amdhsa_exception_fp_ieee_underflow 0
		.amdhsa_exception_fp_ieee_inexact 0
		.amdhsa_exception_int_div_zero 0
	.end_amdhsa_kernel
	.text
.Lfunc_end37:
	.size	Transform_H_S_110_16_16_VW_4, .Lfunc_end37-Transform_H_S_110_16_16_VW_4
                                        ; -- End function
	.set Transform_H_S_110_16_16_VW_4.num_vgpr, max(42, .L__assert_fail.num_vgpr)
	.set Transform_H_S_110_16_16_VW_4.num_agpr, max(0, .L__assert_fail.num_agpr)
	.set Transform_H_S_110_16_16_VW_4.numbered_sgpr, max(33, .L__assert_fail.numbered_sgpr)
	.set Transform_H_S_110_16_16_VW_4.num_named_barrier, max(0, .L__assert_fail.num_named_barrier)
	.set Transform_H_S_110_16_16_VW_4.private_seg_size, 0+max(.L__assert_fail.private_seg_size)
	.set Transform_H_S_110_16_16_VW_4.uses_vcc, or(1, .L__assert_fail.uses_vcc)
	.set Transform_H_S_110_16_16_VW_4.uses_flat_scratch, or(1, .L__assert_fail.uses_flat_scratch)
	.set Transform_H_S_110_16_16_VW_4.has_dyn_sized_stack, or(0, .L__assert_fail.has_dyn_sized_stack)
	.set Transform_H_S_110_16_16_VW_4.has_recursion, or(0, .L__assert_fail.has_recursion)
	.set Transform_H_S_110_16_16_VW_4.has_indirect_call, or(0, .L__assert_fail.has_indirect_call)
	.section	.AMDGPU.csdata,"",@progbits
; Kernel info:
; codeLenInByte = 1672
; TotalNumSgprs: 40
; NumVgprs: 42
; ScratchSize: 64
; MemoryBound: 0
; FloatMode: 240
; IeeeMode: 1
; LDSByteSize: 0 bytes/workgroup (compile time only)
; SGPRBlocks: 4
; VGPRBlocks: 10
; NumSGPRsForWavesPerEU: 40
; NumVGPRsForWavesPerEU: 42
; Occupancy: 5
; WaveLimiterHint : 1
; COMPUTE_PGM_RSRC2:SCRATCH_EN: 1
; COMPUTE_PGM_RSRC2:USER_SGPR: 8
; COMPUTE_PGM_RSRC2:TRAP_HANDLER: 0
; COMPUTE_PGM_RSRC2:TGID_X_EN: 1
; COMPUTE_PGM_RSRC2:TGID_Y_EN: 0
; COMPUTE_PGM_RSRC2:TGID_Z_EN: 1
; COMPUTE_PGM_RSRC2:TIDIG_COMP_CNT: 0
	.text
	.protected	Transform_H_S_101_16_16_VW_1 ; -- Begin function Transform_H_S_101_16_16_VW_1
	.globl	Transform_H_S_101_16_16_VW_1
	.p2align	8
	.type	Transform_H_S_101_16_16_VW_1,@function
Transform_H_S_101_16_16_VW_1:           ; @Transform_H_S_101_16_16_VW_1
; %bb.0:
	s_mov_b64 s[26:27], s[4:5]
	s_load_dword s4, s[4:5], 0x64
	s_add_u32 flat_scratch_lo, s6, s10
	s_addc_u32 flat_scratch_hi, s7, 0
	s_add_u32 s0, s0, s10
	s_addc_u32 s1, s1, 0
	s_waitcnt lgkmcnt(0)
	s_and_b32 s4, s4, 0xffff
	s_mov_b32 s28, s9
	s_mov_b32 s29, s8
	v_mov_b32_e32 v41, v0
	s_cmpk_eq_i32 s4, 0x100
	s_mov_b64 s[4:5], -1
	s_mov_b32 s32, 0
	s_cbranch_scc1 .LBB38_2
; %bb.1:
	s_add_u32 s8, s26, 0x58
	s_addc_u32 s9, s27, 0
	s_getpc_b64 s[4:5]
	s_add_u32 s4, s4, __PRETTY_FUNCTION__._ZN10amd_detail9transformIDF16_fLb1ELb0ELb1ELj16ELj16ELj1EEEvPT_PKS1_S4_T0_PKS5_S5_S7_jjjjjjbb@rel32@lo+4
	s_addc_u32 s5, s5, __PRETTY_FUNCTION__._ZN10amd_detail9transformIDF16_fLb1ELb0ELb1ELj16ELj16ELj1EEEvPT_PKS1_S4_T0_PKS5_S5_S7_jjjjjjbb@rel32@hi+12
	s_getpc_b64 s[6:7]
	s_add_u32 s6, s6, __assert_fail@rel32@lo+4
	s_addc_u32 s7, s7, __assert_fail@rel32@hi+12
	v_mov_b32_e32 v0, s4
	v_mov_b32_e32 v1, s5
	s_swappc_b64 s[30:31], s[6:7]
	s_mov_b64 s[4:5], 0
	; divergent unreachable
.LBB38_2:
	s_andn2_b64 vcc, exec, s[4:5]
	s_cbranch_vccnz .LBB38_13
; %bb.3:
	s_load_dwordx8 s[4:11], s[26:27], 0x38
	s_waitcnt lgkmcnt(0)
	s_lshr_b32 s11, s4, 4
	s_and_b32 s12, s4, 15
	s_cmp_lg_u32 s12, 0
	s_cselect_b64 s[12:13], -1, 0
	s_cmp_lg_u64 s[12:13], 0
	s_addc_u32 s11, s11, 0
	v_cvt_f32_u32_e32 v0, s11
	s_load_dword s15, s[26:27], 0x18
	s_load_dwordx2 s[12:13], s[26:27], 0x20
	s_sub_i32 s14, 0, s11
	v_rcp_iflag_f32_e32 v0, v0
	v_mul_f32_e32 v0, 0x4f7ffffe, v0
	v_cvt_u32_f32_e32 v0, v0
	v_readfirstlane_b32 s16, v0
	s_mul_i32 s14, s14, s16
	s_mul_hi_u32 s14, s16, s14
	s_add_i32 s16, s16, s14
	s_mul_hi_u32 s14, s29, s16
	s_waitcnt lgkmcnt(0)
	s_cmp_eq_u64 s[12:13], 0
	v_mov_b32_e32 v0, s15
	s_cbranch_scc1 .LBB38_5
; %bb.4:
	v_mov_b32_e32 v0, 0
	global_load_dword v0, v0, s[12:13]
.LBB38_5:
	s_load_dwordx2 s[12:13], s[26:27], 0x30
	s_load_dword s15, s[26:27], 0x28
	s_waitcnt lgkmcnt(0)
	s_cmp_eq_u64 s[12:13], 0
	v_mov_b32_e32 v1, s15
	s_cbranch_scc1 .LBB38_7
; %bb.6:
	v_mov_b32_e32 v1, 0
	global_load_dword v1, v1, s[12:13]
.LBB38_7:
	s_mul_i32 s12, s14, s11
	s_sub_i32 s12, s29, s12
	s_add_i32 s13, s14, 1
	s_sub_i32 s15, s12, s11
	s_cmp_ge_u32 s12, s11
	s_cselect_b32 s13, s13, s14
	s_cselect_b32 s12, s15, s12
	s_add_i32 s14, s13, 1
	s_cmp_ge_u32 s12, s11
	s_cselect_b32 s12, s14, s13
	s_mul_i32 s11, s12, s11
	s_sub_i32 s11, s29, s11
	v_and_b32_e32 v2, 15, v41
	v_lshrrev_b32_e32 v4, 4, v41
	v_lshl_or_b32 v3, s11, 4, v2
	v_lshl_add_u32 v2, s12, 4, v4
	v_cmp_gt_u32_e32 vcc, s4, v3
	v_cmp_gt_u32_e64 s[4:5], s5, v2
	s_and_b64 s[4:5], vcc, s[4:5]
	s_and_saveexec_b64 s[12:13], s[4:5]
	s_cbranch_execz .LBB38_13
; %bb.8:
	s_load_dwordx4 s[12:15], s[26:27], 0x0
	s_load_dwordx2 s[4:5], s[26:27], 0x10
	s_mul_i32 s9, s9, s28
	v_mov_b32_e32 v5, 0
	v_mov_b32_e32 v4, 0
	s_waitcnt lgkmcnt(0)
	s_cmp_eq_u64 s[14:15], 0
	s_cbranch_scc1 .LBB38_10
; %bb.9:
	s_bitcmp1_b32 s10, 0
	s_cselect_b64 vcc, -1, 0
	v_cndmask_b32_e32 v4, v3, v2, vcc
	v_mul_lo_u32 v4, v4, s6
	v_cndmask_b32_e32 v6, v2, v3, vcc
	v_mov_b32_e32 v7, 0
	v_add3_u32 v6, v6, s9, v4
	v_lshlrev_b64 v[6:7], 1, v[6:7]
	v_mov_b32_e32 v4, s15
	v_add_co_u32_e32 v6, vcc, s14, v6
	v_addc_co_u32_e32 v7, vcc, v4, v7, vcc
	global_load_ushort v4, v[6:7], off
	s_waitcnt vmcnt(0)
	v_cvt_f32_f16_e32 v4, v4
.LBB38_10:
	s_cmp_eq_u64 s[4:5], 0
	s_cbranch_scc1 .LBB38_12
; %bb.11:
	s_load_dword s6, s[26:27], 0x50
	v_mov_b32_e32 v6, 0
	v_mov_b32_e32 v7, s5
	s_waitcnt lgkmcnt(0)
	s_bitcmp1_b32 s6, 8
	s_cselect_b64 vcc, -1, 0
	v_cndmask_b32_e32 v5, v2, v3, vcc
	v_mul_lo_u32 v5, v5, s7
	v_cndmask_b32_e32 v8, v3, v2, vcc
	v_add3_u32 v5, v8, s9, v5
	v_lshlrev_b64 v[5:6], 1, v[5:6]
	v_add_co_u32_e32 v5, vcc, s4, v5
	v_addc_co_u32_e32 v6, vcc, v7, v6, vcc
	global_load_ushort v5, v[5:6], off
	s_waitcnt vmcnt(0)
	v_cvt_f32_f16_e32 v5, v5
.LBB38_12:
	v_mul_lo_u32 v3, v3, s8
	s_waitcnt vmcnt(0)
	v_mul_f32_e32 v5, v1, v5
	v_mov_b32_e32 v1, 0
	v_fma_mixlo_f16 v4, v0, v4, v5
	v_add3_u32 v0, v2, s9, v3
	v_lshlrev_b64 v[0:1], 1, v[0:1]
	v_mov_b32_e32 v2, s13
	v_add_co_u32_e32 v0, vcc, s12, v0
	v_addc_co_u32_e32 v1, vcc, v2, v1, vcc
	global_store_short v[0:1], v4, off
.LBB38_13:
	s_endpgm
	.section	.rodata,"a",@progbits
	.p2align	6, 0x0
	.amdhsa_kernel Transform_H_S_101_16_16_VW_1
		.amdhsa_group_segment_fixed_size 0
		.amdhsa_private_segment_fixed_size 64
		.amdhsa_kernarg_size 344
		.amdhsa_user_sgpr_count 8
		.amdhsa_user_sgpr_private_segment_buffer 1
		.amdhsa_user_sgpr_dispatch_ptr 0
		.amdhsa_user_sgpr_queue_ptr 0
		.amdhsa_user_sgpr_kernarg_segment_ptr 1
		.amdhsa_user_sgpr_dispatch_id 0
		.amdhsa_user_sgpr_flat_scratch_init 1
		.amdhsa_user_sgpr_private_segment_size 0
		.amdhsa_uses_dynamic_stack 0
		.amdhsa_system_sgpr_private_segment_wavefront_offset 1
		.amdhsa_system_sgpr_workgroup_id_x 1
		.amdhsa_system_sgpr_workgroup_id_y 0
		.amdhsa_system_sgpr_workgroup_id_z 1
		.amdhsa_system_sgpr_workgroup_info 0
		.amdhsa_system_vgpr_workitem_id 0
		.amdhsa_next_free_vgpr 42
		.amdhsa_next_free_sgpr 34
		.amdhsa_reserve_vcc 1
		.amdhsa_reserve_flat_scratch 1
		.amdhsa_float_round_mode_32 0
		.amdhsa_float_round_mode_16_64 0
		.amdhsa_float_denorm_mode_32 3
		.amdhsa_float_denorm_mode_16_64 3
		.amdhsa_dx10_clamp 1
		.amdhsa_ieee_mode 1
		.amdhsa_fp16_overflow 0
		.amdhsa_exception_fp_ieee_invalid_op 0
		.amdhsa_exception_fp_denorm_src 0
		.amdhsa_exception_fp_ieee_div_zero 0
		.amdhsa_exception_fp_ieee_overflow 0
		.amdhsa_exception_fp_ieee_underflow 0
		.amdhsa_exception_fp_ieee_inexact 0
		.amdhsa_exception_int_div_zero 0
	.end_amdhsa_kernel
	.text
.Lfunc_end38:
	.size	Transform_H_S_101_16_16_VW_1, .Lfunc_end38-Transform_H_S_101_16_16_VW_1
                                        ; -- End function
	.set Transform_H_S_101_16_16_VW_1.num_vgpr, max(42, .L__assert_fail.num_vgpr)
	.set Transform_H_S_101_16_16_VW_1.num_agpr, max(0, .L__assert_fail.num_agpr)
	.set Transform_H_S_101_16_16_VW_1.numbered_sgpr, max(33, .L__assert_fail.numbered_sgpr)
	.set Transform_H_S_101_16_16_VW_1.num_named_barrier, max(0, .L__assert_fail.num_named_barrier)
	.set Transform_H_S_101_16_16_VW_1.private_seg_size, 0+max(.L__assert_fail.private_seg_size)
	.set Transform_H_S_101_16_16_VW_1.uses_vcc, or(1, .L__assert_fail.uses_vcc)
	.set Transform_H_S_101_16_16_VW_1.uses_flat_scratch, or(1, .L__assert_fail.uses_flat_scratch)
	.set Transform_H_S_101_16_16_VW_1.has_dyn_sized_stack, or(0, .L__assert_fail.has_dyn_sized_stack)
	.set Transform_H_S_101_16_16_VW_1.has_recursion, or(0, .L__assert_fail.has_recursion)
	.set Transform_H_S_101_16_16_VW_1.has_indirect_call, or(0, .L__assert_fail.has_indirect_call)
	.section	.AMDGPU.csdata,"",@progbits
; Kernel info:
; codeLenInByte = 680
; TotalNumSgprs: 40
; NumVgprs: 42
; ScratchSize: 64
; MemoryBound: 0
; FloatMode: 240
; IeeeMode: 1
; LDSByteSize: 0 bytes/workgroup (compile time only)
; SGPRBlocks: 4
; VGPRBlocks: 10
; NumSGPRsForWavesPerEU: 40
; NumVGPRsForWavesPerEU: 42
; Occupancy: 5
; WaveLimiterHint : 1
; COMPUTE_PGM_RSRC2:SCRATCH_EN: 1
; COMPUTE_PGM_RSRC2:USER_SGPR: 8
; COMPUTE_PGM_RSRC2:TRAP_HANDLER: 0
; COMPUTE_PGM_RSRC2:TGID_X_EN: 1
; COMPUTE_PGM_RSRC2:TGID_Y_EN: 0
; COMPUTE_PGM_RSRC2:TGID_Z_EN: 1
; COMPUTE_PGM_RSRC2:TIDIG_COMP_CNT: 0
	.text
	.protected	Transform_H_S_101_16_16_VW_4 ; -- Begin function Transform_H_S_101_16_16_VW_4
	.globl	Transform_H_S_101_16_16_VW_4
	.p2align	8
	.type	Transform_H_S_101_16_16_VW_4,@function
Transform_H_S_101_16_16_VW_4:           ; @Transform_H_S_101_16_16_VW_4
; %bb.0:
	s_mov_b64 s[26:27], s[4:5]
	s_load_dword s4, s[4:5], 0x64
	s_add_u32 flat_scratch_lo, s6, s10
	s_addc_u32 flat_scratch_hi, s7, 0
	s_add_u32 s0, s0, s10
	s_addc_u32 s1, s1, 0
	s_waitcnt lgkmcnt(0)
	s_and_b32 s4, s4, 0xffff
	s_mov_b32 s29, s9
	s_mov_b32 s28, s8
	v_mov_b32_e32 v41, v0
	s_cmpk_eq_i32 s4, 0x100
	s_mov_b64 s[4:5], -1
	s_mov_b32 s32, 0
	s_cbranch_scc1 .LBB39_2
; %bb.1:
	s_add_u32 s8, s26, 0x58
	s_addc_u32 s9, s27, 0
	s_getpc_b64 s[4:5]
	s_add_u32 s4, s4, __PRETTY_FUNCTION__._ZN10amd_detail9transformIDF16_fLb1ELb0ELb1ELj16ELj16ELj4EEEvPT_PKS1_S4_T0_PKS5_S5_S7_jjjjjjbb@rel32@lo+4
	s_addc_u32 s5, s5, __PRETTY_FUNCTION__._ZN10amd_detail9transformIDF16_fLb1ELb0ELb1ELj16ELj16ELj4EEEvPT_PKS1_S4_T0_PKS5_S5_S7_jjjjjjbb@rel32@hi+12
	s_getpc_b64 s[6:7]
	s_add_u32 s6, s6, __assert_fail@rel32@lo+4
	s_addc_u32 s7, s7, __assert_fail@rel32@hi+12
	v_mov_b32_e32 v0, s4
	v_mov_b32_e32 v1, s5
	s_swappc_b64 s[30:31], s[6:7]
	s_mov_b64 s[4:5], 0
	; divergent unreachable
.LBB39_2:
	s_andn2_b64 vcc, exec, s[4:5]
	s_cbranch_vccnz .LBB39_54
; %bb.3:
	s_load_dwordx4 s[12:15], s[26:27], 0x38
	s_waitcnt lgkmcnt(0)
	s_lshr_b32 s6, s12, 4
	s_and_b32 s4, s12, 15
	s_cmp_lg_u32 s4, 0
	s_cselect_b64 s[4:5], -1, 0
	s_cmp_lg_u64 s[4:5], 0
	s_addc_u32 s6, s6, 0
	v_cvt_f32_u32_e32 v0, s6
	s_load_dword s8, s[26:27], 0x18
	s_load_dwordx2 s[4:5], s[26:27], 0x20
	s_sub_i32 s7, 0, s6
	v_rcp_iflag_f32_e32 v0, v0
	s_waitcnt lgkmcnt(0)
	v_mov_b32_e32 v13, s8
	v_mul_f32_e32 v0, 0x4f7ffffe, v0
	v_cvt_u32_f32_e32 v0, v0
	v_readfirstlane_b32 s9, v0
	s_mul_i32 s7, s7, s9
	s_mul_hi_u32 s7, s9, s7
	s_add_i32 s9, s9, s7
	s_mul_hi_u32 s7, s28, s9
	s_cmp_eq_u64 s[4:5], 0
	s_cbranch_scc1 .LBB39_5
; %bb.4:
	v_mov_b32_e32 v0, 0
	global_load_dword v13, v0, s[4:5]
.LBB39_5:
	s_load_dwordx2 s[4:5], s[26:27], 0x30
	s_load_dword s8, s[26:27], 0x28
	s_waitcnt lgkmcnt(0)
	s_cmp_eq_u64 s[4:5], 0
	v_mov_b32_e32 v14, s8
	s_cbranch_scc1 .LBB39_7
; %bb.6:
	v_mov_b32_e32 v0, 0
	global_load_dword v14, v0, s[4:5]
.LBB39_7:
	s_mul_i32 s4, s7, s6
	s_sub_i32 s4, s28, s4
	s_add_i32 s5, s7, 1
	s_sub_i32 s8, s4, s6
	s_cmp_ge_u32 s4, s6
	s_cselect_b32 s5, s5, s7
	s_cselect_b32 s4, s8, s4
	s_add_i32 s7, s5, 1
	s_cmp_ge_u32 s4, s6
	s_cselect_b32 s4, s7, s5
	s_mul_i32 s30, s4, s6
	s_sub_i32 s5, s28, s30
	v_and_b32_e32 v9, 15, v41
	v_lshl_or_b32 v1, s5, 4, v9
	v_cmp_gt_u32_e32 vcc, s12, v1
	s_and_saveexec_b64 s[6:7], vcc
	s_cbranch_execz .LBB39_54
; %bb.8:
	v_lshrrev_b32_e32 v0, 2, v41
	s_lshl_b32 s12, s4, 6
	v_and_b32_e32 v11, 0xfc, v0
	s_load_dwordx4 s[20:23], s[26:27], 0x48
	v_add_u32_e32 v10, s12, v11
	v_add_u32_e32 v12, 4, v10
	v_sub_u32_e64 v0, v12, s13 clamp
	s_load_dwordx4 s[16:19], s[26:27], 0x0
	s_load_dwordx2 s[24:25], s[26:27], 0x10
	v_sub_u32_e32 v2, v10, v0
	v_mad_u64_u32 v[5:6], s[4:5], v1, s14, v[2:3]
	s_waitcnt lgkmcnt(0)
	s_bitcmp1_b32 s22, 0
	s_cselect_b64 vcc, -1, 0
	s_cmp_lg_u64 s[18:19], 0
	s_mul_i32 s21, s21, s29
	s_cselect_b64 s[10:11], -1, 0
	s_cmp_eq_u64 s[18:19], 0
	v_mov_b32_e32 v16, 0
	v_mov_b32_e32 v15, 0
	s_cbranch_scc1 .LBB39_10
; %bb.9:
	v_mad_u64_u32 v[3:4], s[4:5], v2, s14, v[1:2]
	v_mov_b32_e32 v4, 0
	v_mov_b32_e32 v6, s19
	v_cndmask_b32_e32 v3, v5, v3, vcc
	v_add_u32_e32 v3, s21, v3
	v_lshlrev_b64 v[3:4], 1, v[3:4]
	v_add_co_u32_e64 v3, s[4:5], s18, v3
	v_addc_co_u32_e64 v4, s[4:5], v6, v4, s[4:5]
	global_load_ushort v3, v[3:4], off
	s_waitcnt vmcnt(0)
	v_cvt_f32_f16_e32 v15, v3
.LBB39_10:
	s_load_dword s6, s[26:27], 0x50
	s_xor_b64 s[8:9], vcc, -1
	v_mad_u64_u32 v[3:4], s[4:5], v1, s15, v[2:3]
	s_waitcnt lgkmcnt(0)
	s_bitcmp1_b32 s6, 8
	s_cselect_b64 s[6:7], -1, 0
	s_cmp_lg_u64 s[24:25], 0
	s_cselect_b64 s[22:23], -1, 0
	s_cmp_eq_u64 s[24:25], 0
	s_cbranch_scc1 .LBB39_12
; %bb.11:
	v_mad_u64_u32 v[6:7], s[4:5], v2, s15, v[1:2]
	v_mov_b32_e32 v7, 0
	v_mov_b32_e32 v4, s25
	v_cndmask_b32_e64 v6, v6, v3, s[6:7]
	v_add_u32_e32 v6, s21, v6
	v_lshlrev_b64 v[6:7], 1, v[6:7]
	v_add_co_u32_e32 v6, vcc, s24, v6
	v_addc_co_u32_e32 v7, vcc, v4, v7, vcc
	global_load_ushort v4, v[6:7], off
	s_waitcnt vmcnt(0)
	v_cvt_f32_f16_e32 v16, v4
.LBB39_12:
	v_cndmask_b32_e64 v4, 0, 1, s[8:9]
	v_cmp_ne_u32_e64 s[4:5], 1, v4
	s_andn2_b64 vcc, exec, s[8:9]
	s_cbranch_vccnz .LBB39_14
; %bb.13:
	v_add_u32_e32 v4, 1, v5
	s_xor_b64 s[8:9], s[6:7], -1
	s_cbranch_execz .LBB39_15
	s_branch .LBB39_16
.LBB39_14:
                                        ; implicit-def: $vgpr4
	s_xor_b64 s[8:9], s[6:7], -1
.LBB39_15:
	v_mul_lo_u32 v4, s14, v2
	v_add3_u32 v4, v4, s14, v1
.LBB39_16:
	v_cndmask_b32_e64 v6, 0, 1, s[8:9]
	v_cmp_ne_u32_e64 s[6:7], 1, v6
	s_andn2_b64 vcc, exec, s[8:9]
	s_cbranch_vccnz .LBB39_18
; %bb.17:
	v_mul_lo_u32 v6, s15, v2
	v_add3_u32 v6, v6, s15, v1
	s_cbranch_execz .LBB39_19
	s_branch .LBB39_20
.LBB39_18:
                                        ; implicit-def: $vgpr6
.LBB39_19:
	v_add_u32_e32 v6, 1, v3
.LBB39_20:
	v_cndmask_b32_e64 v7, 0, 1, s[10:11]
	v_mov_b32_e32 v17, 0
	v_cmp_ne_u32_e64 s[8:9], 1, v7
	s_andn2_b64 vcc, exec, s[10:11]
	v_mov_b32_e32 v18, 0
	s_cbranch_vccnz .LBB39_22
; %bb.21:
	v_add_u32_e32 v7, s21, v4
	v_mov_b32_e32 v8, 0
	v_lshlrev_b64 v[7:8], 1, v[7:8]
	v_mov_b32_e32 v4, s19
	v_add_co_u32_e32 v7, vcc, s18, v7
	v_addc_co_u32_e32 v8, vcc, v4, v8, vcc
	global_load_ushort v4, v[7:8], off
	s_waitcnt vmcnt(0)
	v_cvt_f32_f16_e32 v18, v4
.LBB39_22:
	v_cndmask_b32_e64 v4, 0, 1, s[22:23]
	v_cmp_ne_u32_e64 s[10:11], 1, v4
	s_andn2_b64 vcc, exec, s[22:23]
	s_cbranch_vccnz .LBB39_24
; %bb.23:
	v_add_u32_e32 v6, s21, v6
	v_mov_b32_e32 v7, 0
	v_lshlrev_b64 v[6:7], 1, v[6:7]
	v_mov_b32_e32 v4, s25
	v_add_co_u32_e32 v6, vcc, s24, v6
	v_addc_co_u32_e32 v7, vcc, v4, v7, vcc
	global_load_ushort v4, v[6:7], off
	s_waitcnt vmcnt(0)
	v_cvt_f32_f16_e32 v17, v4
.LBB39_24:
	s_and_b64 vcc, exec, s[4:5]
	s_cbranch_vccnz .LBB39_26
; %bb.25:
	v_add_u32_e32 v6, 2, v5
	v_add_u32_e32 v4, 2, v2
	s_cbranch_execz .LBB39_27
	s_branch .LBB39_28
.LBB39_26:
                                        ; implicit-def: $vgpr6
	v_add_u32_e32 v4, 2, v2
.LBB39_27:
	v_mad_u64_u32 v[6:7], s[22:23], v4, s14, v[1:2]
.LBB39_28:
	s_and_b64 vcc, exec, s[6:7]
	s_cbranch_vccnz .LBB39_30
; %bb.29:
	v_mad_u64_u32 v[7:8], s[22:23], v4, s15, v[1:2]
	s_cbranch_execz .LBB39_31
	s_branch .LBB39_32
.LBB39_30:
                                        ; implicit-def: $vgpr7
.LBB39_31:
	v_add_u32_e32 v7, 2, v3
.LBB39_32:
	v_mov_b32_e32 v8, 0
	s_and_b64 vcc, exec, s[8:9]
	v_mov_b32_e32 v19, 0
	s_cbranch_vccnz .LBB39_34
; %bb.33:
	v_add_u32_e32 v19, s21, v6
	v_mov_b32_e32 v20, 0
	v_lshlrev_b64 v[19:20], 1, v[19:20]
	v_mov_b32_e32 v4, s19
	v_add_co_u32_e32 v19, vcc, s18, v19
	v_addc_co_u32_e32 v20, vcc, v4, v20, vcc
	global_load_ushort v4, v[19:20], off
	s_waitcnt vmcnt(0)
	v_cvt_f32_f16_e32 v19, v4
.LBB39_34:
	s_and_b64 vcc, exec, s[10:11]
	s_cbranch_vccnz .LBB39_36
; %bb.35:
	v_add_u32_e32 v6, s21, v7
	v_mov_b32_e32 v7, 0
	v_lshlrev_b64 v[6:7], 1, v[6:7]
	v_mov_b32_e32 v4, s25
	v_add_co_u32_e32 v6, vcc, s24, v6
	v_addc_co_u32_e32 v7, vcc, v4, v7, vcc
	global_load_ushort v4, v[6:7], off
	s_waitcnt vmcnt(0)
	v_cvt_f32_f16_e32 v8, v4
.LBB39_36:
	s_and_b64 vcc, exec, s[4:5]
	s_cbranch_vccnz .LBB39_38
; %bb.37:
	v_add_u32_e32 v4, 3, v5
	v_add_u32_e32 v2, 3, v2
	s_cbranch_execz .LBB39_39
	s_branch .LBB39_40
.LBB39_38:
                                        ; implicit-def: $vgpr4
	v_add_u32_e32 v2, 3, v2
.LBB39_39:
	v_mad_u64_u32 v[4:5], s[4:5], v2, s14, v[1:2]
.LBB39_40:
	s_and_b64 vcc, exec, s[6:7]
	s_cbranch_vccnz .LBB39_42
; %bb.41:
	v_mad_u64_u32 v[5:6], s[4:5], v2, s15, v[1:2]
	s_cbranch_execz .LBB39_43
	s_branch .LBB39_44
.LBB39_42:
                                        ; implicit-def: $vgpr5
.LBB39_43:
	v_add_u32_e32 v5, 3, v3
.LBB39_44:
	v_mov_b32_e32 v2, 0
	s_and_b64 vcc, exec, s[8:9]
	v_mov_b32_e32 v6, 0
	s_cbranch_vccnz .LBB39_46
; %bb.45:
	v_add_u32_e32 v3, s21, v4
	v_mov_b32_e32 v4, 0
	v_lshlrev_b64 v[3:4], 1, v[3:4]
	v_mov_b32_e32 v6, s19
	v_add_co_u32_e32 v3, vcc, s18, v3
	v_addc_co_u32_e32 v4, vcc, v6, v4, vcc
	global_load_ushort v3, v[3:4], off
	s_waitcnt vmcnt(0)
	v_cvt_f32_f16_e32 v6, v3
.LBB39_46:
	s_and_b64 vcc, exec, s[10:11]
	s_cbranch_vccnz .LBB39_48
; %bb.47:
	v_add_u32_e32 v2, s21, v5
	v_mov_b32_e32 v3, 0
	v_lshlrev_b64 v[2:3], 1, v[2:3]
	v_mov_b32_e32 v4, s25
	v_add_co_u32_e32 v2, vcc, s24, v2
	v_addc_co_u32_e32 v3, vcc, v4, v3, vcc
	global_load_ushort v2, v[2:3], off
	s_waitcnt vmcnt(0)
	v_cvt_f32_f16_e32 v2, v2
.LBB39_48:
	s_waitcnt vmcnt(0)
	v_mul_f32_e32 v3, v14, v16
	v_fma_mixlo_f16 v5, v13, v15, v3
	v_mul_f32_e32 v3, v14, v17
	v_fma_mixlo_f16 v4, v13, v18, v3
	v_mul_f32_e32 v3, v14, v8
	v_mul_f32_e32 v2, v14, v2
	v_fma_mixlo_f16 v3, v13, v19, v3
	v_fma_mixlo_f16 v2, v13, v6, v2
	v_cmp_ge_u32_e32 vcc, s13, v12
	s_and_saveexec_b64 s[4:5], vcc
	s_xor_b64 s[4:5], exec, s[4:5]
	s_cbranch_execz .LBB39_50
; %bb.49:
	v_mul_lo_u32 v6, v1, s20
	v_mov_b32_e32 v1, 0
	v_mov_b32_e32 v8, s17
                                        ; implicit-def: $vgpr9
                                        ; implicit-def: $vgpr11
                                        ; implicit-def: $vgpr12
	v_add3_u32 v6, v10, s21, v6
	v_sub_u32_e32 v0, v6, v0
	v_lshlrev_b64 v[6:7], 1, v[0:1]
                                        ; implicit-def: $vgpr10
	v_add_co_u32_e32 v6, vcc, s16, v6
	v_addc_co_u32_e32 v7, vcc, v8, v7, vcc
	global_store_short v[6:7], v5, off
	v_add_u32_e32 v5, 1, v0
	v_mov_b32_e32 v6, v1
	v_lshlrev_b64 v[5:6], 1, v[5:6]
	v_mov_b32_e32 v7, s17
	v_add_co_u32_e32 v5, vcc, s16, v5
	v_addc_co_u32_e32 v6, vcc, v7, v6, vcc
	global_store_short v[5:6], v4, off
	v_add_u32_e32 v4, 2, v0
	v_mov_b32_e32 v5, v1
	v_lshlrev_b64 v[4:5], 1, v[4:5]
	v_add_u32_e32 v0, 3, v0
	v_mov_b32_e32 v6, s17
	v_add_co_u32_e32 v4, vcc, s16, v4
	v_lshlrev_b64 v[0:1], 1, v[0:1]
	v_addc_co_u32_e32 v5, vcc, v6, v5, vcc
	global_store_short v[4:5], v3, off
	v_mov_b32_e32 v3, s17
	v_add_co_u32_e32 v0, vcc, s16, v0
	v_addc_co_u32_e32 v1, vcc, v3, v1, vcc
	global_store_short v[0:1], v2, off
                                        ; implicit-def: $vgpr0
                                        ; implicit-def: $vgpr5
                                        ; implicit-def: $vgpr4
                                        ; implicit-def: $vgpr3
                                        ; implicit-def: $vgpr2
.LBB39_50:
	s_andn2_saveexec_b64 s[4:5], s[4:5]
	s_cbranch_execz .LBB39_54
; %bb.51:
	v_cmp_gt_u32_e32 vcc, 4, v0
	s_and_b64 exec, exec, vcc
	s_cbranch_execz .LBB39_54
; %bb.52:
	s_mov_b32 s4, 0x5040100
	v_perm_b32 v3, v2, v3, s4
	v_perm_b32 v2, v4, v5, s4
	v_lshl_or_b32 v4, s28, 4, v9
	s_lshl_b32 s4, s30, 4
	v_subrev_u32_e32 v4, s4, v4
	v_mul_lo_u32 v4, s20, v4
	v_min_u32_e32 v1, s13, v12
	v_sub_u32_e32 v1, v10, v1
	v_add_u32_e32 v6, 3, v1
	s_add_i32 s12, s12, s21
	v_mov_b32_e32 v1, 0
	v_add3_u32 v8, s12, v4, v11
	v_mov_b32_e32 v5, v1
	s_mov_b64 s[6:7], 0
	v_mov_b32_e32 v7, s17
	v_mov_b32_e32 v4, v0
	;; [unrolled: 1-line block ×3, first 2 shown]
.LBB39_53:                              ; =>This Inner Loop Header: Depth=1
	v_lshlrev_b32_e32 v10, 4, v4
	v_lshlrev_b64 v[8:9], 1, v[0:1]
	v_add_co_u32_e32 v4, vcc, 1, v4
	v_add_u32_e32 v6, 1, v6
	v_addc_co_u32_e32 v5, vcc, 0, v5, vcc
	v_lshrrev_b64 v[10:11], v10, v[2:3]
	v_cmp_lt_u32_e32 vcc, 2, v6
	v_add_co_u32_e64 v8, s[4:5], s16, v8
	v_add_u32_e32 v0, 1, v0
	v_addc_co_u32_e64 v9, s[4:5], v7, v9, s[4:5]
	s_or_b64 s[6:7], vcc, s[6:7]
	global_store_short v[8:9], v10, off
	s_andn2_b64 exec, exec, s[6:7]
	s_cbranch_execnz .LBB39_53
.LBB39_54:
	s_endpgm
	.section	.rodata,"a",@progbits
	.p2align	6, 0x0
	.amdhsa_kernel Transform_H_S_101_16_16_VW_4
		.amdhsa_group_segment_fixed_size 0
		.amdhsa_private_segment_fixed_size 64
		.amdhsa_kernarg_size 344
		.amdhsa_user_sgpr_count 8
		.amdhsa_user_sgpr_private_segment_buffer 1
		.amdhsa_user_sgpr_dispatch_ptr 0
		.amdhsa_user_sgpr_queue_ptr 0
		.amdhsa_user_sgpr_kernarg_segment_ptr 1
		.amdhsa_user_sgpr_dispatch_id 0
		.amdhsa_user_sgpr_flat_scratch_init 1
		.amdhsa_user_sgpr_private_segment_size 0
		.amdhsa_uses_dynamic_stack 0
		.amdhsa_system_sgpr_private_segment_wavefront_offset 1
		.amdhsa_system_sgpr_workgroup_id_x 1
		.amdhsa_system_sgpr_workgroup_id_y 0
		.amdhsa_system_sgpr_workgroup_id_z 1
		.amdhsa_system_sgpr_workgroup_info 0
		.amdhsa_system_vgpr_workitem_id 0
		.amdhsa_next_free_vgpr 42
		.amdhsa_next_free_sgpr 34
		.amdhsa_reserve_vcc 1
		.amdhsa_reserve_flat_scratch 1
		.amdhsa_float_round_mode_32 0
		.amdhsa_float_round_mode_16_64 0
		.amdhsa_float_denorm_mode_32 3
		.amdhsa_float_denorm_mode_16_64 3
		.amdhsa_dx10_clamp 1
		.amdhsa_ieee_mode 1
		.amdhsa_fp16_overflow 0
		.amdhsa_exception_fp_ieee_invalid_op 0
		.amdhsa_exception_fp_denorm_src 0
		.amdhsa_exception_fp_ieee_div_zero 0
		.amdhsa_exception_fp_ieee_overflow 0
		.amdhsa_exception_fp_ieee_underflow 0
		.amdhsa_exception_fp_ieee_inexact 0
		.amdhsa_exception_int_div_zero 0
	.end_amdhsa_kernel
	.text
.Lfunc_end39:
	.size	Transform_H_S_101_16_16_VW_4, .Lfunc_end39-Transform_H_S_101_16_16_VW_4
                                        ; -- End function
	.set Transform_H_S_101_16_16_VW_4.num_vgpr, max(42, .L__assert_fail.num_vgpr)
	.set Transform_H_S_101_16_16_VW_4.num_agpr, max(0, .L__assert_fail.num_agpr)
	.set Transform_H_S_101_16_16_VW_4.numbered_sgpr, max(33, .L__assert_fail.numbered_sgpr)
	.set Transform_H_S_101_16_16_VW_4.num_named_barrier, max(0, .L__assert_fail.num_named_barrier)
	.set Transform_H_S_101_16_16_VW_4.private_seg_size, 0+max(.L__assert_fail.private_seg_size)
	.set Transform_H_S_101_16_16_VW_4.uses_vcc, or(1, .L__assert_fail.uses_vcc)
	.set Transform_H_S_101_16_16_VW_4.uses_flat_scratch, or(1, .L__assert_fail.uses_flat_scratch)
	.set Transform_H_S_101_16_16_VW_4.has_dyn_sized_stack, or(0, .L__assert_fail.has_dyn_sized_stack)
	.set Transform_H_S_101_16_16_VW_4.has_recursion, or(0, .L__assert_fail.has_recursion)
	.set Transform_H_S_101_16_16_VW_4.has_indirect_call, or(0, .L__assert_fail.has_indirect_call)
	.section	.AMDGPU.csdata,"",@progbits
; Kernel info:
; codeLenInByte = 1692
; TotalNumSgprs: 40
; NumVgprs: 42
; ScratchSize: 64
; MemoryBound: 0
; FloatMode: 240
; IeeeMode: 1
; LDSByteSize: 0 bytes/workgroup (compile time only)
; SGPRBlocks: 4
; VGPRBlocks: 10
; NumSGPRsForWavesPerEU: 40
; NumVGPRsForWavesPerEU: 42
; Occupancy: 5
; WaveLimiterHint : 1
; COMPUTE_PGM_RSRC2:SCRATCH_EN: 1
; COMPUTE_PGM_RSRC2:USER_SGPR: 8
; COMPUTE_PGM_RSRC2:TRAP_HANDLER: 0
; COMPUTE_PGM_RSRC2:TGID_X_EN: 1
; COMPUTE_PGM_RSRC2:TGID_Y_EN: 0
; COMPUTE_PGM_RSRC2:TGID_Z_EN: 1
; COMPUTE_PGM_RSRC2:TIDIG_COMP_CNT: 0
	.text
	.protected	Transform_H_S_100_16_16_VW_1 ; -- Begin function Transform_H_S_100_16_16_VW_1
	.globl	Transform_H_S_100_16_16_VW_1
	.p2align	8
	.type	Transform_H_S_100_16_16_VW_1,@function
Transform_H_S_100_16_16_VW_1:           ; @Transform_H_S_100_16_16_VW_1
; %bb.0:
	s_mov_b64 s[26:27], s[4:5]
	s_load_dword s4, s[4:5], 0x64
	s_add_u32 flat_scratch_lo, s6, s10
	s_addc_u32 flat_scratch_hi, s7, 0
	s_add_u32 s0, s0, s10
	s_addc_u32 s1, s1, 0
	s_waitcnt lgkmcnt(0)
	s_and_b32 s4, s4, 0xffff
	s_mov_b32 s28, s9
	s_mov_b32 s29, s8
	v_mov_b32_e32 v41, v0
	s_cmpk_eq_i32 s4, 0x100
	s_mov_b64 s[4:5], -1
	s_mov_b32 s32, 0
	s_cbranch_scc1 .LBB40_2
; %bb.1:
	s_add_u32 s8, s26, 0x58
	s_addc_u32 s9, s27, 0
	s_getpc_b64 s[4:5]
	s_add_u32 s4, s4, __PRETTY_FUNCTION__._ZN10amd_detail9transformIDF16_fLb1ELb0ELb0ELj16ELj16ELj1EEEvPT_PKS1_S4_T0_PKS5_S5_S7_jjjjjjbb@rel32@lo+4
	s_addc_u32 s5, s5, __PRETTY_FUNCTION__._ZN10amd_detail9transformIDF16_fLb1ELb0ELb0ELj16ELj16ELj1EEEvPT_PKS1_S4_T0_PKS5_S5_S7_jjjjjjbb@rel32@hi+12
	s_getpc_b64 s[6:7]
	s_add_u32 s6, s6, __assert_fail@rel32@lo+4
	s_addc_u32 s7, s7, __assert_fail@rel32@hi+12
	v_mov_b32_e32 v0, s4
	v_mov_b32_e32 v1, s5
	s_swappc_b64 s[30:31], s[6:7]
	s_mov_b64 s[4:5], 0
	; divergent unreachable
.LBB40_2:
	s_andn2_b64 vcc, exec, s[4:5]
	s_cbranch_vccnz .LBB40_13
; %bb.3:
	s_load_dwordx8 s[4:11], s[26:27], 0x38
	s_waitcnt lgkmcnt(0)
	s_lshr_b32 s11, s4, 4
	s_and_b32 s12, s4, 15
	s_cmp_lg_u32 s12, 0
	s_cselect_b64 s[12:13], -1, 0
	s_cmp_lg_u64 s[12:13], 0
	s_addc_u32 s11, s11, 0
	v_cvt_f32_u32_e32 v0, s11
	s_load_dword s15, s[26:27], 0x18
	s_load_dwordx2 s[12:13], s[26:27], 0x20
	s_sub_i32 s14, 0, s11
	v_rcp_iflag_f32_e32 v0, v0
	v_mul_f32_e32 v0, 0x4f7ffffe, v0
	v_cvt_u32_f32_e32 v0, v0
	v_readfirstlane_b32 s16, v0
	s_mul_i32 s14, s14, s16
	s_mul_hi_u32 s14, s16, s14
	s_add_i32 s16, s16, s14
	s_mul_hi_u32 s14, s29, s16
	s_waitcnt lgkmcnt(0)
	s_cmp_eq_u64 s[12:13], 0
	v_mov_b32_e32 v0, s15
	s_cbranch_scc1 .LBB40_5
; %bb.4:
	v_mov_b32_e32 v0, 0
	global_load_dword v0, v0, s[12:13]
.LBB40_5:
	s_load_dwordx2 s[12:13], s[26:27], 0x30
	s_load_dword s15, s[26:27], 0x28
	s_waitcnt lgkmcnt(0)
	s_cmp_eq_u64 s[12:13], 0
	v_mov_b32_e32 v1, s15
	s_cbranch_scc1 .LBB40_7
; %bb.6:
	v_mov_b32_e32 v1, 0
	global_load_dword v1, v1, s[12:13]
.LBB40_7:
	s_mul_i32 s12, s14, s11
	s_sub_i32 s12, s29, s12
	s_add_i32 s13, s14, 1
	s_sub_i32 s15, s12, s11
	s_cmp_ge_u32 s12, s11
	s_cselect_b32 s13, s13, s14
	s_cselect_b32 s12, s15, s12
	s_add_i32 s14, s13, 1
	s_cmp_ge_u32 s12, s11
	s_cselect_b32 s12, s14, s13
	s_mul_i32 s11, s12, s11
	s_sub_i32 s11, s29, s11
	v_and_b32_e32 v2, 15, v41
	v_lshrrev_b32_e32 v3, 4, v41
	v_lshl_or_b32 v2, s11, 4, v2
	v_lshl_add_u32 v3, s12, 4, v3
	v_cmp_gt_u32_e32 vcc, s4, v2
	v_cmp_gt_u32_e64 s[4:5], s5, v3
	s_and_b64 s[4:5], vcc, s[4:5]
	s_and_saveexec_b64 s[12:13], s[4:5]
	s_cbranch_execz .LBB40_13
; %bb.8:
	s_load_dwordx4 s[12:15], s[26:27], 0x0
	s_load_dwordx2 s[4:5], s[26:27], 0x10
	s_mul_i32 s9, s9, s28
	v_mov_b32_e32 v5, 0
	v_mov_b32_e32 v4, 0
	s_waitcnt lgkmcnt(0)
	s_cmp_eq_u64 s[14:15], 0
	s_cbranch_scc1 .LBB40_10
; %bb.9:
	s_bitcmp1_b32 s10, 0
	s_cselect_b64 vcc, -1, 0
	v_cndmask_b32_e32 v4, v2, v3, vcc
	v_mul_lo_u32 v4, v4, s6
	v_cndmask_b32_e32 v6, v3, v2, vcc
	v_mov_b32_e32 v7, 0
	v_add3_u32 v6, v6, s9, v4
	v_lshlrev_b64 v[6:7], 1, v[6:7]
	v_mov_b32_e32 v4, s15
	v_add_co_u32_e32 v6, vcc, s14, v6
	v_addc_co_u32_e32 v7, vcc, v4, v7, vcc
	global_load_ushort v4, v[6:7], off
	s_waitcnt vmcnt(0)
	v_cvt_f32_f16_e32 v4, v4
.LBB40_10:
	s_cmp_eq_u64 s[4:5], 0
	s_cbranch_scc1 .LBB40_12
; %bb.11:
	s_load_dword s6, s[26:27], 0x50
	v_mov_b32_e32 v6, 0
	v_mov_b32_e32 v7, s5
	s_waitcnt lgkmcnt(0)
	s_bitcmp1_b32 s6, 8
	s_cselect_b64 vcc, -1, 0
	v_cndmask_b32_e32 v5, v3, v2, vcc
	v_mul_lo_u32 v5, v5, s7
	v_cndmask_b32_e32 v8, v2, v3, vcc
	v_add3_u32 v5, v8, s9, v5
	v_lshlrev_b64 v[5:6], 1, v[5:6]
	v_add_co_u32_e32 v5, vcc, s4, v5
	v_addc_co_u32_e32 v6, vcc, v7, v6, vcc
	global_load_ushort v5, v[5:6], off
	s_waitcnt vmcnt(0)
	v_cvt_f32_f16_e32 v5, v5
.LBB40_12:
	v_mul_lo_u32 v3, v3, s8
	s_waitcnt vmcnt(0)
	v_mul_f32_e32 v5, v1, v5
	v_mov_b32_e32 v1, 0
	v_fma_mixlo_f16 v4, v0, v4, v5
	v_add3_u32 v0, v2, s9, v3
	v_lshlrev_b64 v[0:1], 1, v[0:1]
	v_mov_b32_e32 v2, s13
	v_add_co_u32_e32 v0, vcc, s12, v0
	v_addc_co_u32_e32 v1, vcc, v2, v1, vcc
	global_store_short v[0:1], v4, off
.LBB40_13:
	s_endpgm
	.section	.rodata,"a",@progbits
	.p2align	6, 0x0
	.amdhsa_kernel Transform_H_S_100_16_16_VW_1
		.amdhsa_group_segment_fixed_size 0
		.amdhsa_private_segment_fixed_size 64
		.amdhsa_kernarg_size 344
		.amdhsa_user_sgpr_count 8
		.amdhsa_user_sgpr_private_segment_buffer 1
		.amdhsa_user_sgpr_dispatch_ptr 0
		.amdhsa_user_sgpr_queue_ptr 0
		.amdhsa_user_sgpr_kernarg_segment_ptr 1
		.amdhsa_user_sgpr_dispatch_id 0
		.amdhsa_user_sgpr_flat_scratch_init 1
		.amdhsa_user_sgpr_private_segment_size 0
		.amdhsa_uses_dynamic_stack 0
		.amdhsa_system_sgpr_private_segment_wavefront_offset 1
		.amdhsa_system_sgpr_workgroup_id_x 1
		.amdhsa_system_sgpr_workgroup_id_y 0
		.amdhsa_system_sgpr_workgroup_id_z 1
		.amdhsa_system_sgpr_workgroup_info 0
		.amdhsa_system_vgpr_workitem_id 0
		.amdhsa_next_free_vgpr 42
		.amdhsa_next_free_sgpr 34
		.amdhsa_reserve_vcc 1
		.amdhsa_reserve_flat_scratch 1
		.amdhsa_float_round_mode_32 0
		.amdhsa_float_round_mode_16_64 0
		.amdhsa_float_denorm_mode_32 3
		.amdhsa_float_denorm_mode_16_64 3
		.amdhsa_dx10_clamp 1
		.amdhsa_ieee_mode 1
		.amdhsa_fp16_overflow 0
		.amdhsa_exception_fp_ieee_invalid_op 0
		.amdhsa_exception_fp_denorm_src 0
		.amdhsa_exception_fp_ieee_div_zero 0
		.amdhsa_exception_fp_ieee_overflow 0
		.amdhsa_exception_fp_ieee_underflow 0
		.amdhsa_exception_fp_ieee_inexact 0
		.amdhsa_exception_int_div_zero 0
	.end_amdhsa_kernel
	.text
.Lfunc_end40:
	.size	Transform_H_S_100_16_16_VW_1, .Lfunc_end40-Transform_H_S_100_16_16_VW_1
                                        ; -- End function
	.set Transform_H_S_100_16_16_VW_1.num_vgpr, max(42, .L__assert_fail.num_vgpr)
	.set Transform_H_S_100_16_16_VW_1.num_agpr, max(0, .L__assert_fail.num_agpr)
	.set Transform_H_S_100_16_16_VW_1.numbered_sgpr, max(33, .L__assert_fail.numbered_sgpr)
	.set Transform_H_S_100_16_16_VW_1.num_named_barrier, max(0, .L__assert_fail.num_named_barrier)
	.set Transform_H_S_100_16_16_VW_1.private_seg_size, 0+max(.L__assert_fail.private_seg_size)
	.set Transform_H_S_100_16_16_VW_1.uses_vcc, or(1, .L__assert_fail.uses_vcc)
	.set Transform_H_S_100_16_16_VW_1.uses_flat_scratch, or(1, .L__assert_fail.uses_flat_scratch)
	.set Transform_H_S_100_16_16_VW_1.has_dyn_sized_stack, or(0, .L__assert_fail.has_dyn_sized_stack)
	.set Transform_H_S_100_16_16_VW_1.has_recursion, or(0, .L__assert_fail.has_recursion)
	.set Transform_H_S_100_16_16_VW_1.has_indirect_call, or(0, .L__assert_fail.has_indirect_call)
	.section	.AMDGPU.csdata,"",@progbits
; Kernel info:
; codeLenInByte = 680
; TotalNumSgprs: 40
; NumVgprs: 42
; ScratchSize: 64
; MemoryBound: 0
; FloatMode: 240
; IeeeMode: 1
; LDSByteSize: 0 bytes/workgroup (compile time only)
; SGPRBlocks: 4
; VGPRBlocks: 10
; NumSGPRsForWavesPerEU: 40
; NumVGPRsForWavesPerEU: 42
; Occupancy: 5
; WaveLimiterHint : 1
; COMPUTE_PGM_RSRC2:SCRATCH_EN: 1
; COMPUTE_PGM_RSRC2:USER_SGPR: 8
; COMPUTE_PGM_RSRC2:TRAP_HANDLER: 0
; COMPUTE_PGM_RSRC2:TGID_X_EN: 1
; COMPUTE_PGM_RSRC2:TGID_Y_EN: 0
; COMPUTE_PGM_RSRC2:TGID_Z_EN: 1
; COMPUTE_PGM_RSRC2:TIDIG_COMP_CNT: 0
	.text
	.protected	Transform_H_S_100_16_16_VW_4 ; -- Begin function Transform_H_S_100_16_16_VW_4
	.globl	Transform_H_S_100_16_16_VW_4
	.p2align	8
	.type	Transform_H_S_100_16_16_VW_4,@function
Transform_H_S_100_16_16_VW_4:           ; @Transform_H_S_100_16_16_VW_4
; %bb.0:
	s_mov_b64 s[26:27], s[4:5]
	s_load_dword s4, s[4:5], 0x64
	s_add_u32 flat_scratch_lo, s6, s10
	s_addc_u32 flat_scratch_hi, s7, 0
	s_add_u32 s0, s0, s10
	s_addc_u32 s1, s1, 0
	s_waitcnt lgkmcnt(0)
	s_and_b32 s4, s4, 0xffff
	s_mov_b32 s29, s9
	s_mov_b32 s28, s8
	v_mov_b32_e32 v41, v0
	s_cmpk_eq_i32 s4, 0x100
	s_mov_b64 s[4:5], -1
	s_mov_b32 s32, 0
	s_cbranch_scc1 .LBB41_2
; %bb.1:
	s_add_u32 s8, s26, 0x58
	s_addc_u32 s9, s27, 0
	s_getpc_b64 s[4:5]
	s_add_u32 s4, s4, __PRETTY_FUNCTION__._ZN10amd_detail9transformIDF16_fLb1ELb0ELb0ELj16ELj16ELj4EEEvPT_PKS1_S4_T0_PKS5_S5_S7_jjjjjjbb@rel32@lo+4
	s_addc_u32 s5, s5, __PRETTY_FUNCTION__._ZN10amd_detail9transformIDF16_fLb1ELb0ELb0ELj16ELj16ELj4EEEvPT_PKS1_S4_T0_PKS5_S5_S7_jjjjjjbb@rel32@hi+12
	s_getpc_b64 s[6:7]
	s_add_u32 s6, s6, __assert_fail@rel32@lo+4
	s_addc_u32 s7, s7, __assert_fail@rel32@hi+12
	v_mov_b32_e32 v0, s4
	v_mov_b32_e32 v1, s5
	s_swappc_b64 s[30:31], s[6:7]
	s_mov_b64 s[4:5], 0
	; divergent unreachable
.LBB41_2:
	s_andn2_b64 vcc, exec, s[4:5]
	s_cbranch_vccnz .LBB41_54
; %bb.3:
	s_load_dwordx8 s[12:19], s[26:27], 0x38
	s_waitcnt lgkmcnt(0)
	s_lshr_b32 s6, s12, 6
	s_and_b32 s4, s12, 63
	s_cmp_lg_u32 s4, 0
	s_cselect_b64 s[4:5], -1, 0
	s_cmp_lg_u64 s[4:5], 0
	s_addc_u32 s6, s6, 0
	v_cvt_f32_u32_e32 v0, s6
	s_load_dword s8, s[26:27], 0x18
	s_load_dwordx2 s[4:5], s[26:27], 0x20
	s_sub_i32 s7, 0, s6
	v_rcp_iflag_f32_e32 v0, v0
	s_waitcnt lgkmcnt(0)
	v_mov_b32_e32 v7, s8
	v_mul_f32_e32 v0, 0x4f7ffffe, v0
	v_cvt_u32_f32_e32 v0, v0
	v_readfirstlane_b32 s9, v0
	s_mul_i32 s7, s7, s9
	s_mul_hi_u32 s7, s9, s7
	s_add_i32 s9, s9, s7
	s_mul_hi_u32 s7, s28, s9
	s_cmp_eq_u64 s[4:5], 0
	s_cbranch_scc1 .LBB41_5
; %bb.4:
	v_mov_b32_e32 v0, 0
	global_load_dword v7, v0, s[4:5]
.LBB41_5:
	s_load_dwordx2 s[4:5], s[26:27], 0x30
	s_load_dword s8, s[26:27], 0x28
	s_waitcnt lgkmcnt(0)
	s_cmp_eq_u64 s[4:5], 0
	v_mov_b32_e32 v10, s8
	s_cbranch_scc1 .LBB41_7
; %bb.6:
	v_mov_b32_e32 v0, 0
	global_load_dword v10, v0, s[4:5]
.LBB41_7:
	s_mul_i32 s4, s7, s6
	s_sub_i32 s4, s28, s4
	s_add_i32 s5, s7, 1
	s_sub_i32 s8, s4, s6
	s_cmp_ge_u32 s4, s6
	s_cselect_b32 s5, s5, s7
	s_cselect_b32 s4, s8, s4
	s_add_i32 s7, s5, 1
	s_cmp_ge_u32 s4, s6
	s_cselect_b32 s30, s7, s5
	v_lshrrev_b32_e32 v0, 4, v41
	v_lshl_add_u32 v0, s30, 4, v0
	v_cmp_gt_u32_e32 vcc, s13, v0
	s_and_saveexec_b64 s[4:5], vcc
	s_cbranch_execz .LBB41_54
; %bb.8:
	s_mul_i32 s30, s30, s6
	v_lshlrev_b32_e32 v1, 2, v41
	s_sub_i32 s4, s28, s30
	v_and_b32_e32 v8, 60, v1
	v_lshl_or_b32 v11, s4, 6, v8
	v_add_u32_e32 v12, 4, v11
	s_load_dwordx4 s[20:23], s[26:27], 0x0
	s_load_dwordx2 s[24:25], s[26:27], 0x10
	v_sub_u32_e64 v9, v12, s12 clamp
	v_sub_u32_e32 v3, v11, v9
	v_mad_u64_u32 v[1:2], s[4:5], v0, s14, v[3:4]
	s_bitcmp1_b32 s18, 0
	s_cselect_b64 vcc, -1, 0
	s_waitcnt lgkmcnt(0)
	s_cmp_lg_u64 s[22:23], 0
	s_mul_i32 s13, s17, s29
	s_cselect_b64 s[10:11], -1, 0
	s_cmp_eq_u64 s[22:23], 0
	v_mov_b32_e32 v13, 0
	v_mov_b32_e32 v14, 0
	s_cbranch_scc1 .LBB41_10
; %bb.9:
	v_mad_u64_u32 v[4:5], s[4:5], v3, s14, v[0:1]
	v_mov_b32_e32 v5, 0
	v_mov_b32_e32 v2, s23
	v_cndmask_b32_e32 v4, v4, v1, vcc
	v_add_u32_e32 v4, s13, v4
	v_lshlrev_b64 v[4:5], 1, v[4:5]
	v_add_co_u32_e64 v4, s[4:5], s22, v4
	v_addc_co_u32_e64 v5, s[4:5], v2, v5, s[4:5]
	global_load_ushort v2, v[4:5], off
	s_waitcnt vmcnt(0)
	v_cvt_f32_f16_e32 v14, v2
.LBB41_10:
	s_load_dword s6, s[26:27], 0x50
	s_xor_b64 s[8:9], vcc, -1
	v_mad_u64_u32 v[4:5], s[4:5], v0, s15, v[3:4]
	v_mul_lo_u32 v15, v3, s15
	s_waitcnt lgkmcnt(0)
	s_bitcmp1_b32 s6, 8
	s_cselect_b64 s[6:7], -1, 0
	s_cmp_lg_u64 s[24:25], 0
	s_cselect_b64 s[18:19], -1, 0
	s_cmp_eq_u64 s[24:25], 0
	s_cbranch_scc1 .LBB41_12
; %bb.11:
	v_add_u32_e32 v2, v15, v0
	v_cndmask_b32_e64 v2, v4, v2, s[6:7]
	v_add_u32_e32 v5, s13, v2
	v_mov_b32_e32 v6, 0
	v_lshlrev_b64 v[5:6], 1, v[5:6]
	v_mov_b32_e32 v2, s25
	v_add_co_u32_e32 v5, vcc, s24, v5
	v_addc_co_u32_e32 v6, vcc, v2, v6, vcc
	global_load_ushort v2, v[5:6], off
	s_waitcnt vmcnt(0)
	v_cvt_f32_f16_e32 v13, v2
.LBB41_12:
	v_cndmask_b32_e64 v2, 0, 1, s[8:9]
	v_cmp_ne_u32_e64 s[4:5], 1, v2
	s_andn2_b64 vcc, exec, s[8:9]
	s_cbranch_vccnz .LBB41_14
; %bb.13:
	v_mul_lo_u32 v2, s14, v3
	v_add3_u32 v2, v2, s14, v0
	s_xor_b64 s[8:9], s[6:7], -1
	s_cbranch_execz .LBB41_15
	s_branch .LBB41_16
.LBB41_14:
                                        ; implicit-def: $vgpr2
	s_xor_b64 s[8:9], s[6:7], -1
.LBB41_15:
	v_add_u32_e32 v2, 1, v1
.LBB41_16:
	v_cndmask_b32_e64 v5, 0, 1, s[8:9]
	v_cmp_ne_u32_e64 s[6:7], 1, v5
	s_andn2_b64 vcc, exec, s[8:9]
	s_cbranch_vccnz .LBB41_18
; %bb.17:
	v_add_u32_e32 v5, 1, v4
	s_cbranch_execz .LBB41_19
	s_branch .LBB41_20
.LBB41_18:
                                        ; implicit-def: $vgpr5
.LBB41_19:
	v_add3_u32 v5, v15, s15, v0
.LBB41_20:
	v_cndmask_b32_e64 v6, 0, 1, s[10:11]
	v_mov_b32_e32 v16, 0
	v_cmp_ne_u32_e64 s[8:9], 1, v6
	s_andn2_b64 vcc, exec, s[10:11]
	v_mov_b32_e32 v17, 0
	s_cbranch_vccnz .LBB41_22
; %bb.21:
	v_add_u32_e32 v17, s13, v2
	v_mov_b32_e32 v18, 0
	v_lshlrev_b64 v[17:18], 1, v[17:18]
	v_mov_b32_e32 v2, s23
	v_add_co_u32_e32 v17, vcc, s22, v17
	v_addc_co_u32_e32 v18, vcc, v2, v18, vcc
	global_load_ushort v2, v[17:18], off
	s_waitcnt vmcnt(0)
	v_cvt_f32_f16_e32 v17, v2
.LBB41_22:
	v_cndmask_b32_e64 v2, 0, 1, s[18:19]
	v_cmp_ne_u32_e64 s[10:11], 1, v2
	s_andn2_b64 vcc, exec, s[18:19]
	s_cbranch_vccnz .LBB41_24
; %bb.23:
	v_add_u32_e32 v5, s13, v5
	v_mov_b32_e32 v6, 0
	v_lshlrev_b64 v[5:6], 1, v[5:6]
	v_mov_b32_e32 v2, s25
	v_add_co_u32_e32 v5, vcc, s24, v5
	v_addc_co_u32_e32 v6, vcc, v2, v6, vcc
	global_load_ushort v2, v[5:6], off
	s_waitcnt vmcnt(0)
	v_cvt_f32_f16_e32 v16, v2
.LBB41_24:
	s_and_b64 vcc, exec, s[4:5]
	s_cbranch_vccnz .LBB41_26
; %bb.25:
	v_add_u32_e32 v2, 2, v3
	v_mad_u64_u32 v[5:6], s[18:19], v2, s14, v[0:1]
	s_cbranch_execz .LBB41_27
	s_branch .LBB41_28
.LBB41_26:
                                        ; implicit-def: $vgpr5
.LBB41_27:
	v_add_u32_e32 v5, 2, v1
.LBB41_28:
	s_and_b64 vcc, exec, s[6:7]
	s_cbranch_vccnz .LBB41_30
; %bb.29:
	v_add_u32_e32 v2, 2, v4
	s_cbranch_execz .LBB41_31
	s_branch .LBB41_32
.LBB41_30:
                                        ; implicit-def: $vgpr2
.LBB41_31:
	s_lshl_b32 s17, s15, 1
	v_add3_u32 v2, v15, s17, v0
.LBB41_32:
	v_mov_b32_e32 v6, 0
	s_and_b64 vcc, exec, s[8:9]
	v_mov_b32_e32 v18, 0
	s_cbranch_vccnz .LBB41_34
; %bb.33:
	v_add_u32_e32 v18, s13, v5
	v_mov_b32_e32 v19, 0
	v_lshlrev_b64 v[18:19], 1, v[18:19]
	v_mov_b32_e32 v5, s23
	v_add_co_u32_e32 v18, vcc, s22, v18
	v_addc_co_u32_e32 v19, vcc, v5, v19, vcc
	global_load_ushort v5, v[18:19], off
	s_waitcnt vmcnt(0)
	v_cvt_f32_f16_e32 v18, v5
.LBB41_34:
	s_and_b64 vcc, exec, s[10:11]
	s_cbranch_vccnz .LBB41_36
; %bb.35:
	v_add_u32_e32 v5, s13, v2
	v_mov_b32_e32 v6, 0
	v_lshlrev_b64 v[5:6], 1, v[5:6]
	v_mov_b32_e32 v2, s25
	v_add_co_u32_e32 v5, vcc, s24, v5
	v_addc_co_u32_e32 v6, vcc, v2, v6, vcc
	global_load_ushort v2, v[5:6], off
	s_waitcnt vmcnt(0)
	v_cvt_f32_f16_e32 v6, v2
.LBB41_36:
	s_and_b64 vcc, exec, s[4:5]
	s_cbranch_vccnz .LBB41_38
; %bb.37:
	v_add_u32_e32 v2, 3, v3
	v_mad_u64_u32 v[2:3], s[4:5], v2, s14, v[0:1]
	s_cbranch_execz .LBB41_39
	s_branch .LBB41_40
.LBB41_38:
                                        ; implicit-def: $vgpr2
.LBB41_39:
	v_add_u32_e32 v2, 3, v1
.LBB41_40:
	s_and_b64 vcc, exec, s[6:7]
	s_cbranch_vccnz .LBB41_42
; %bb.41:
	v_add_u32_e32 v1, 3, v4
	s_cbranch_execz .LBB41_43
	s_branch .LBB41_44
.LBB41_42:
                                        ; implicit-def: $vgpr1
.LBB41_43:
	s_mul_i32 s4, s15, 3
	v_add3_u32 v1, v15, s4, v0
.LBB41_44:
	v_mov_b32_e32 v5, 0
	s_and_b64 vcc, exec, s[8:9]
	v_mov_b32_e32 v15, 0
	s_cbranch_vccnz .LBB41_46
; %bb.45:
	v_add_u32_e32 v2, s13, v2
	v_mov_b32_e32 v3, 0
	v_lshlrev_b64 v[2:3], 1, v[2:3]
	v_mov_b32_e32 v4, s23
	v_add_co_u32_e32 v2, vcc, s22, v2
	v_addc_co_u32_e32 v3, vcc, v4, v3, vcc
	global_load_ushort v2, v[2:3], off
	s_waitcnt vmcnt(0)
	v_cvt_f32_f16_e32 v15, v2
.LBB41_46:
	s_and_b64 vcc, exec, s[10:11]
	s_cbranch_vccnz .LBB41_48
; %bb.47:
	v_add_u32_e32 v1, s13, v1
	v_mov_b32_e32 v2, 0
	v_lshlrev_b64 v[1:2], 1, v[1:2]
	v_mov_b32_e32 v3, s25
	v_add_co_u32_e32 v1, vcc, s24, v1
	v_addc_co_u32_e32 v2, vcc, v3, v2, vcc
	global_load_ushort v1, v[1:2], off
	s_waitcnt vmcnt(0)
	v_cvt_f32_f16_e32 v5, v1
.LBB41_48:
	s_waitcnt vmcnt(0)
	v_mul_f32_e32 v1, v10, v13
	v_mul_lo_u32 v4, v0, s16
	v_fma_mixlo_f16 v3, v7, v14, v1
	v_mul_f32_e32 v1, v10, v16
	v_fma_mixlo_f16 v2, v7, v17, v1
	v_mul_f32_e32 v1, v10, v6
	v_mul_f32_e32 v0, v10, v5
	v_fma_mixlo_f16 v1, v7, v18, v1
	v_fma_mixlo_f16 v0, v7, v15, v0
	v_cmp_ge_u32_e32 vcc, s12, v12
	s_and_saveexec_b64 s[4:5], vcc
	s_xor_b64 s[4:5], exec, s[4:5]
	s_cbranch_execz .LBB41_50
; %bb.49:
	v_add_u32_e32 v5, s13, v11
	v_sub_u32_e32 v5, v5, v9
	v_add_u32_e32 v4, v5, v4
	v_mov_b32_e32 v5, 0
	v_lshlrev_b64 v[6:7], 1, v[4:5]
	v_mov_b32_e32 v8, s21
	v_add_co_u32_e32 v6, vcc, s20, v6
	v_addc_co_u32_e32 v7, vcc, v8, v7, vcc
	global_store_short v[6:7], v3, off
	v_add_u32_e32 v6, 1, v4
	v_mov_b32_e32 v7, v5
	v_lshlrev_b64 v[6:7], 1, v[6:7]
	v_mov_b32_e32 v3, s21
	v_add_co_u32_e32 v6, vcc, s20, v6
	v_addc_co_u32_e32 v7, vcc, v3, v7, vcc
	global_store_short v[6:7], v2, off
	v_add_u32_e32 v2, 2, v4
	v_mov_b32_e32 v3, v5
	v_lshlrev_b64 v[2:3], 1, v[2:3]
	v_mov_b32_e32 v6, s21
	v_add_co_u32_e32 v2, vcc, s20, v2
	v_addc_co_u32_e32 v3, vcc, v6, v3, vcc
	v_add_u32_e32 v4, 3, v4
	global_store_short v[2:3], v1, off
	v_lshlrev_b64 v[1:2], 1, v[4:5]
	v_mov_b32_e32 v3, s21
	v_add_co_u32_e32 v1, vcc, s20, v1
	v_addc_co_u32_e32 v2, vcc, v3, v2, vcc
	global_store_short v[1:2], v0, off
                                        ; implicit-def: $vgpr9
                                        ; implicit-def: $vgpr0
                                        ; implicit-def: $vgpr1
                                        ; implicit-def: $vgpr2
                                        ; implicit-def: $vgpr3
                                        ; implicit-def: $vgpr8
                                        ; implicit-def: $vgpr4
.LBB41_50:
	s_andn2_saveexec_b64 s[4:5], s[4:5]
	s_cbranch_execz .LBB41_54
; %bb.51:
	v_cmp_gt_u32_e32 vcc, 4, v9
	s_and_b64 exec, exec, vcc
	s_cbranch_execz .LBB41_54
; %bb.52:
	s_mov_b32 s4, 0x5040100
	v_perm_b32 v1, v0, v1, s4
	v_perm_b32 v0, v2, v3, s4
	v_lshl_or_b32 v2, s28, 6, v8
	s_lshl_b32 s4, s30, 6
	v_subrev_u32_e32 v3, s4, v2
	v_add_u32_e32 v5, 4, v3
	v_min_u32_e32 v7, s12, v5
	v_sub_u32_e32 v3, v3, v7
	v_add_u32_e32 v6, 3, v3
	v_add3_u32 v2, s13, v4, v2
	v_mov_b32_e32 v3, 0
	v_subrev_u32_e32 v8, s4, v2
	v_sub_u32_e32 v2, v5, v7
	v_mov_b32_e32 v5, v3
	s_mov_b64 s[6:7], 0
	v_mov_b32_e32 v7, s21
	v_mov_b32_e32 v4, v2
	v_mov_b32_e32 v2, v8
.LBB41_53:                              ; =>This Inner Loop Header: Depth=1
	v_lshlrev_b32_e32 v10, 4, v4
	v_lshlrev_b64 v[8:9], 1, v[2:3]
	v_add_co_u32_e32 v4, vcc, 1, v4
	v_add_u32_e32 v6, 1, v6
	v_addc_co_u32_e32 v5, vcc, 0, v5, vcc
	v_lshrrev_b64 v[10:11], v10, v[0:1]
	v_cmp_lt_u32_e32 vcc, 2, v6
	v_add_co_u32_e64 v8, s[4:5], s20, v8
	v_add_u32_e32 v2, 1, v2
	v_addc_co_u32_e64 v9, s[4:5], v7, v9, s[4:5]
	s_or_b64 s[6:7], vcc, s[6:7]
	global_store_short v[8:9], v10, off
	s_andn2_b64 exec, exec, s[6:7]
	s_cbranch_execnz .LBB41_53
.LBB41_54:
	s_endpgm
	.section	.rodata,"a",@progbits
	.p2align	6, 0x0
	.amdhsa_kernel Transform_H_S_100_16_16_VW_4
		.amdhsa_group_segment_fixed_size 0
		.amdhsa_private_segment_fixed_size 64
		.amdhsa_kernarg_size 344
		.amdhsa_user_sgpr_count 8
		.amdhsa_user_sgpr_private_segment_buffer 1
		.amdhsa_user_sgpr_dispatch_ptr 0
		.amdhsa_user_sgpr_queue_ptr 0
		.amdhsa_user_sgpr_kernarg_segment_ptr 1
		.amdhsa_user_sgpr_dispatch_id 0
		.amdhsa_user_sgpr_flat_scratch_init 1
		.amdhsa_user_sgpr_private_segment_size 0
		.amdhsa_uses_dynamic_stack 0
		.amdhsa_system_sgpr_private_segment_wavefront_offset 1
		.amdhsa_system_sgpr_workgroup_id_x 1
		.amdhsa_system_sgpr_workgroup_id_y 0
		.amdhsa_system_sgpr_workgroup_id_z 1
		.amdhsa_system_sgpr_workgroup_info 0
		.amdhsa_system_vgpr_workitem_id 0
		.amdhsa_next_free_vgpr 42
		.amdhsa_next_free_sgpr 34
		.amdhsa_reserve_vcc 1
		.amdhsa_reserve_flat_scratch 1
		.amdhsa_float_round_mode_32 0
		.amdhsa_float_round_mode_16_64 0
		.amdhsa_float_denorm_mode_32 3
		.amdhsa_float_denorm_mode_16_64 3
		.amdhsa_dx10_clamp 1
		.amdhsa_ieee_mode 1
		.amdhsa_fp16_overflow 0
		.amdhsa_exception_fp_ieee_invalid_op 0
		.amdhsa_exception_fp_denorm_src 0
		.amdhsa_exception_fp_ieee_div_zero 0
		.amdhsa_exception_fp_ieee_overflow 0
		.amdhsa_exception_fp_ieee_underflow 0
		.amdhsa_exception_fp_ieee_inexact 0
		.amdhsa_exception_int_div_zero 0
	.end_amdhsa_kernel
	.text
.Lfunc_end41:
	.size	Transform_H_S_100_16_16_VW_4, .Lfunc_end41-Transform_H_S_100_16_16_VW_4
                                        ; -- End function
	.set Transform_H_S_100_16_16_VW_4.num_vgpr, max(42, .L__assert_fail.num_vgpr)
	.set Transform_H_S_100_16_16_VW_4.num_agpr, max(0, .L__assert_fail.num_agpr)
	.set Transform_H_S_100_16_16_VW_4.numbered_sgpr, max(33, .L__assert_fail.numbered_sgpr)
	.set Transform_H_S_100_16_16_VW_4.num_named_barrier, max(0, .L__assert_fail.num_named_barrier)
	.set Transform_H_S_100_16_16_VW_4.private_seg_size, 0+max(.L__assert_fail.private_seg_size)
	.set Transform_H_S_100_16_16_VW_4.uses_vcc, or(1, .L__assert_fail.uses_vcc)
	.set Transform_H_S_100_16_16_VW_4.uses_flat_scratch, or(1, .L__assert_fail.uses_flat_scratch)
	.set Transform_H_S_100_16_16_VW_4.has_dyn_sized_stack, or(0, .L__assert_fail.has_dyn_sized_stack)
	.set Transform_H_S_100_16_16_VW_4.has_recursion, or(0, .L__assert_fail.has_recursion)
	.set Transform_H_S_100_16_16_VW_4.has_indirect_call, or(0, .L__assert_fail.has_indirect_call)
	.section	.AMDGPU.csdata,"",@progbits
; Kernel info:
; codeLenInByte = 1676
; TotalNumSgprs: 40
; NumVgprs: 42
; ScratchSize: 64
; MemoryBound: 0
; FloatMode: 240
; IeeeMode: 1
; LDSByteSize: 0 bytes/workgroup (compile time only)
; SGPRBlocks: 4
; VGPRBlocks: 10
; NumSGPRsForWavesPerEU: 40
; NumVGPRsForWavesPerEU: 42
; Occupancy: 5
; WaveLimiterHint : 1
; COMPUTE_PGM_RSRC2:SCRATCH_EN: 1
; COMPUTE_PGM_RSRC2:USER_SGPR: 8
; COMPUTE_PGM_RSRC2:TRAP_HANDLER: 0
; COMPUTE_PGM_RSRC2:TGID_X_EN: 1
; COMPUTE_PGM_RSRC2:TGID_Y_EN: 0
; COMPUTE_PGM_RSRC2:TGID_Z_EN: 1
; COMPUTE_PGM_RSRC2:TIDIG_COMP_CNT: 0
	.text
	.protected	Transform_H_S_011_16_16_VW_1 ; -- Begin function Transform_H_S_011_16_16_VW_1
	.globl	Transform_H_S_011_16_16_VW_1
	.p2align	8
	.type	Transform_H_S_011_16_16_VW_1,@function
Transform_H_S_011_16_16_VW_1:           ; @Transform_H_S_011_16_16_VW_1
; %bb.0:
	s_mov_b64 s[26:27], s[4:5]
	s_load_dword s4, s[4:5], 0x64
	s_add_u32 flat_scratch_lo, s6, s10
	s_addc_u32 flat_scratch_hi, s7, 0
	s_add_u32 s0, s0, s10
	s_addc_u32 s1, s1, 0
	s_waitcnt lgkmcnt(0)
	s_and_b32 s4, s4, 0xffff
	s_mov_b32 s28, s9
	s_mov_b32 s29, s8
	v_mov_b32_e32 v41, v0
	s_cmpk_eq_i32 s4, 0x100
	s_mov_b64 s[4:5], -1
	s_mov_b32 s32, 0
	s_cbranch_scc1 .LBB42_2
; %bb.1:
	s_add_u32 s8, s26, 0x58
	s_addc_u32 s9, s27, 0
	s_getpc_b64 s[4:5]
	s_add_u32 s4, s4, __PRETTY_FUNCTION__._ZN10amd_detail9transformIDF16_fLb0ELb1ELb1ELj16ELj16ELj1EEEvPT_PKS1_S4_T0_PKS5_S5_S7_jjjjjjbb@rel32@lo+4
	s_addc_u32 s5, s5, __PRETTY_FUNCTION__._ZN10amd_detail9transformIDF16_fLb0ELb1ELb1ELj16ELj16ELj1EEEvPT_PKS1_S4_T0_PKS5_S5_S7_jjjjjjbb@rel32@hi+12
	s_getpc_b64 s[6:7]
	s_add_u32 s6, s6, __assert_fail@rel32@lo+4
	s_addc_u32 s7, s7, __assert_fail@rel32@hi+12
	v_mov_b32_e32 v0, s4
	v_mov_b32_e32 v1, s5
	s_swappc_b64 s[30:31], s[6:7]
	s_mov_b64 s[4:5], 0
	; divergent unreachable
.LBB42_2:
	s_andn2_b64 vcc, exec, s[4:5]
	s_cbranch_vccnz .LBB42_13
; %bb.3:
	s_load_dwordx8 s[4:11], s[26:27], 0x38
	s_waitcnt lgkmcnt(0)
	s_lshr_b32 s11, s4, 4
	s_and_b32 s12, s4, 15
	s_cmp_lg_u32 s12, 0
	s_cselect_b64 s[12:13], -1, 0
	s_cmp_lg_u64 s[12:13], 0
	s_addc_u32 s11, s11, 0
	v_cvt_f32_u32_e32 v0, s11
	s_load_dword s15, s[26:27], 0x18
	s_load_dwordx2 s[12:13], s[26:27], 0x20
	s_sub_i32 s14, 0, s11
	v_rcp_iflag_f32_e32 v0, v0
	v_mul_f32_e32 v0, 0x4f7ffffe, v0
	v_cvt_u32_f32_e32 v0, v0
	v_readfirstlane_b32 s16, v0
	s_mul_i32 s14, s14, s16
	s_mul_hi_u32 s14, s16, s14
	s_add_i32 s16, s16, s14
	s_mul_hi_u32 s14, s29, s16
	s_waitcnt lgkmcnt(0)
	s_cmp_eq_u64 s[12:13], 0
	v_mov_b32_e32 v0, s15
	s_cbranch_scc1 .LBB42_5
; %bb.4:
	v_mov_b32_e32 v0, 0
	global_load_dword v0, v0, s[12:13]
.LBB42_5:
	s_load_dwordx2 s[12:13], s[26:27], 0x30
	s_load_dword s15, s[26:27], 0x28
	s_waitcnt lgkmcnt(0)
	s_cmp_eq_u64 s[12:13], 0
	v_mov_b32_e32 v1, s15
	s_cbranch_scc1 .LBB42_7
; %bb.6:
	v_mov_b32_e32 v1, 0
	global_load_dword v1, v1, s[12:13]
.LBB42_7:
	s_mul_i32 s12, s14, s11
	s_sub_i32 s12, s29, s12
	s_add_i32 s13, s14, 1
	s_sub_i32 s15, s12, s11
	s_cmp_ge_u32 s12, s11
	s_cselect_b32 s13, s13, s14
	s_cselect_b32 s12, s15, s12
	s_add_i32 s14, s13, 1
	s_cmp_ge_u32 s12, s11
	s_cselect_b32 s12, s14, s13
	s_mul_i32 s11, s12, s11
	s_sub_i32 s11, s29, s11
	v_and_b32_e32 v2, 15, v41
	v_lshrrev_b32_e32 v4, 4, v41
	v_lshl_or_b32 v3, s11, 4, v2
	v_lshl_add_u32 v2, s12, 4, v4
	v_cmp_gt_u32_e32 vcc, s4, v3
	v_cmp_gt_u32_e64 s[4:5], s5, v2
	s_and_b64 s[4:5], vcc, s[4:5]
	s_and_saveexec_b64 s[12:13], s[4:5]
	s_cbranch_execz .LBB42_13
; %bb.8:
	s_load_dwordx4 s[12:15], s[26:27], 0x0
	s_load_dwordx2 s[4:5], s[26:27], 0x10
	s_mul_i32 s9, s9, s28
	v_mov_b32_e32 v5, 0
	v_mov_b32_e32 v4, 0
	s_waitcnt lgkmcnt(0)
	s_cmp_eq_u64 s[14:15], 0
	s_cbranch_scc1 .LBB42_10
; %bb.9:
	s_bitcmp1_b32 s10, 0
	s_cselect_b64 vcc, -1, 0
	v_cndmask_b32_e32 v4, v2, v3, vcc
	v_mul_lo_u32 v4, v4, s6
	v_cndmask_b32_e32 v6, v3, v2, vcc
	v_mov_b32_e32 v7, 0
	v_add3_u32 v6, v6, s9, v4
	v_lshlrev_b64 v[6:7], 1, v[6:7]
	v_mov_b32_e32 v4, s15
	v_add_co_u32_e32 v6, vcc, s14, v6
	v_addc_co_u32_e32 v7, vcc, v4, v7, vcc
	global_load_ushort v4, v[6:7], off
	s_waitcnt vmcnt(0)
	v_cvt_f32_f16_e32 v4, v4
.LBB42_10:
	s_cmp_eq_u64 s[4:5], 0
	s_cbranch_scc1 .LBB42_12
; %bb.11:
	s_load_dword s6, s[26:27], 0x50
	v_mov_b32_e32 v6, 0
	v_mov_b32_e32 v7, s5
	s_waitcnt lgkmcnt(0)
	s_bitcmp1_b32 s6, 8
	s_cselect_b64 vcc, -1, 0
	v_cndmask_b32_e32 v5, v3, v2, vcc
	v_mul_lo_u32 v5, v5, s7
	v_cndmask_b32_e32 v8, v2, v3, vcc
	v_add3_u32 v5, v8, s9, v5
	v_lshlrev_b64 v[5:6], 1, v[5:6]
	v_add_co_u32_e32 v5, vcc, s4, v5
	v_addc_co_u32_e32 v6, vcc, v7, v6, vcc
	global_load_ushort v5, v[5:6], off
	s_waitcnt vmcnt(0)
	v_cvt_f32_f16_e32 v5, v5
.LBB42_12:
	v_mul_lo_u32 v3, v3, s8
	s_waitcnt vmcnt(0)
	v_mul_f32_e32 v5, v1, v5
	v_mov_b32_e32 v1, 0
	v_fma_mixlo_f16 v4, v0, v4, v5
	v_add3_u32 v0, v2, s9, v3
	v_lshlrev_b64 v[0:1], 1, v[0:1]
	v_mov_b32_e32 v2, s13
	v_add_co_u32_e32 v0, vcc, s12, v0
	v_addc_co_u32_e32 v1, vcc, v2, v1, vcc
	global_store_short v[0:1], v4, off
.LBB42_13:
	s_endpgm
	.section	.rodata,"a",@progbits
	.p2align	6, 0x0
	.amdhsa_kernel Transform_H_S_011_16_16_VW_1
		.amdhsa_group_segment_fixed_size 0
		.amdhsa_private_segment_fixed_size 64
		.amdhsa_kernarg_size 344
		.amdhsa_user_sgpr_count 8
		.amdhsa_user_sgpr_private_segment_buffer 1
		.amdhsa_user_sgpr_dispatch_ptr 0
		.amdhsa_user_sgpr_queue_ptr 0
		.amdhsa_user_sgpr_kernarg_segment_ptr 1
		.amdhsa_user_sgpr_dispatch_id 0
		.amdhsa_user_sgpr_flat_scratch_init 1
		.amdhsa_user_sgpr_private_segment_size 0
		.amdhsa_uses_dynamic_stack 0
		.amdhsa_system_sgpr_private_segment_wavefront_offset 1
		.amdhsa_system_sgpr_workgroup_id_x 1
		.amdhsa_system_sgpr_workgroup_id_y 0
		.amdhsa_system_sgpr_workgroup_id_z 1
		.amdhsa_system_sgpr_workgroup_info 0
		.amdhsa_system_vgpr_workitem_id 0
		.amdhsa_next_free_vgpr 42
		.amdhsa_next_free_sgpr 34
		.amdhsa_reserve_vcc 1
		.amdhsa_reserve_flat_scratch 1
		.amdhsa_float_round_mode_32 0
		.amdhsa_float_round_mode_16_64 0
		.amdhsa_float_denorm_mode_32 3
		.amdhsa_float_denorm_mode_16_64 3
		.amdhsa_dx10_clamp 1
		.amdhsa_ieee_mode 1
		.amdhsa_fp16_overflow 0
		.amdhsa_exception_fp_ieee_invalid_op 0
		.amdhsa_exception_fp_denorm_src 0
		.amdhsa_exception_fp_ieee_div_zero 0
		.amdhsa_exception_fp_ieee_overflow 0
		.amdhsa_exception_fp_ieee_underflow 0
		.amdhsa_exception_fp_ieee_inexact 0
		.amdhsa_exception_int_div_zero 0
	.end_amdhsa_kernel
	.text
.Lfunc_end42:
	.size	Transform_H_S_011_16_16_VW_1, .Lfunc_end42-Transform_H_S_011_16_16_VW_1
                                        ; -- End function
	.set Transform_H_S_011_16_16_VW_1.num_vgpr, max(42, .L__assert_fail.num_vgpr)
	.set Transform_H_S_011_16_16_VW_1.num_agpr, max(0, .L__assert_fail.num_agpr)
	.set Transform_H_S_011_16_16_VW_1.numbered_sgpr, max(33, .L__assert_fail.numbered_sgpr)
	.set Transform_H_S_011_16_16_VW_1.num_named_barrier, max(0, .L__assert_fail.num_named_barrier)
	.set Transform_H_S_011_16_16_VW_1.private_seg_size, 0+max(.L__assert_fail.private_seg_size)
	.set Transform_H_S_011_16_16_VW_1.uses_vcc, or(1, .L__assert_fail.uses_vcc)
	.set Transform_H_S_011_16_16_VW_1.uses_flat_scratch, or(1, .L__assert_fail.uses_flat_scratch)
	.set Transform_H_S_011_16_16_VW_1.has_dyn_sized_stack, or(0, .L__assert_fail.has_dyn_sized_stack)
	.set Transform_H_S_011_16_16_VW_1.has_recursion, or(0, .L__assert_fail.has_recursion)
	.set Transform_H_S_011_16_16_VW_1.has_indirect_call, or(0, .L__assert_fail.has_indirect_call)
	.section	.AMDGPU.csdata,"",@progbits
; Kernel info:
; codeLenInByte = 680
; TotalNumSgprs: 40
; NumVgprs: 42
; ScratchSize: 64
; MemoryBound: 0
; FloatMode: 240
; IeeeMode: 1
; LDSByteSize: 0 bytes/workgroup (compile time only)
; SGPRBlocks: 4
; VGPRBlocks: 10
; NumSGPRsForWavesPerEU: 40
; NumVGPRsForWavesPerEU: 42
; Occupancy: 5
; WaveLimiterHint : 1
; COMPUTE_PGM_RSRC2:SCRATCH_EN: 1
; COMPUTE_PGM_RSRC2:USER_SGPR: 8
; COMPUTE_PGM_RSRC2:TRAP_HANDLER: 0
; COMPUTE_PGM_RSRC2:TGID_X_EN: 1
; COMPUTE_PGM_RSRC2:TGID_Y_EN: 0
; COMPUTE_PGM_RSRC2:TGID_Z_EN: 1
; COMPUTE_PGM_RSRC2:TIDIG_COMP_CNT: 0
	.text
	.protected	Transform_H_S_011_16_16_VW_4 ; -- Begin function Transform_H_S_011_16_16_VW_4
	.globl	Transform_H_S_011_16_16_VW_4
	.p2align	8
	.type	Transform_H_S_011_16_16_VW_4,@function
Transform_H_S_011_16_16_VW_4:           ; @Transform_H_S_011_16_16_VW_4
; %bb.0:
	s_mov_b64 s[26:27], s[4:5]
	s_load_dword s4, s[4:5], 0x64
	s_add_u32 flat_scratch_lo, s6, s10
	s_addc_u32 flat_scratch_hi, s7, 0
	s_add_u32 s0, s0, s10
	s_addc_u32 s1, s1, 0
	s_waitcnt lgkmcnt(0)
	s_and_b32 s4, s4, 0xffff
	s_mov_b32 s29, s9
	s_mov_b32 s28, s8
	v_mov_b32_e32 v41, v0
	s_cmpk_eq_i32 s4, 0x100
	s_mov_b64 s[4:5], -1
	s_mov_b32 s32, 0
	s_cbranch_scc1 .LBB43_2
; %bb.1:
	s_add_u32 s8, s26, 0x58
	s_addc_u32 s9, s27, 0
	s_getpc_b64 s[4:5]
	s_add_u32 s4, s4, __PRETTY_FUNCTION__._ZN10amd_detail9transformIDF16_fLb0ELb1ELb1ELj16ELj16ELj4EEEvPT_PKS1_S4_T0_PKS5_S5_S7_jjjjjjbb@rel32@lo+4
	s_addc_u32 s5, s5, __PRETTY_FUNCTION__._ZN10amd_detail9transformIDF16_fLb0ELb1ELb1ELj16ELj16ELj4EEEvPT_PKS1_S4_T0_PKS5_S5_S7_jjjjjjbb@rel32@hi+12
	s_getpc_b64 s[6:7]
	s_add_u32 s6, s6, __assert_fail@rel32@lo+4
	s_addc_u32 s7, s7, __assert_fail@rel32@hi+12
	v_mov_b32_e32 v0, s4
	v_mov_b32_e32 v1, s5
	s_swappc_b64 s[30:31], s[6:7]
	s_mov_b64 s[4:5], 0
	; divergent unreachable
.LBB43_2:
	s_andn2_b64 vcc, exec, s[4:5]
	s_cbranch_vccnz .LBB43_54
; %bb.3:
	s_load_dwordx4 s[12:15], s[26:27], 0x38
	s_waitcnt lgkmcnt(0)
	s_lshr_b32 s6, s12, 4
	s_and_b32 s4, s12, 15
	s_cmp_lg_u32 s4, 0
	s_cselect_b64 s[4:5], -1, 0
	s_cmp_lg_u64 s[4:5], 0
	s_addc_u32 s6, s6, 0
	v_cvt_f32_u32_e32 v0, s6
	s_load_dword s8, s[26:27], 0x18
	s_load_dwordx2 s[4:5], s[26:27], 0x20
	s_sub_i32 s7, 0, s6
	v_rcp_iflag_f32_e32 v0, v0
	s_waitcnt lgkmcnt(0)
	v_mov_b32_e32 v12, s8
	v_mul_f32_e32 v0, 0x4f7ffffe, v0
	v_cvt_u32_f32_e32 v0, v0
	v_readfirstlane_b32 s9, v0
	s_mul_i32 s7, s7, s9
	s_mul_hi_u32 s7, s9, s7
	s_add_i32 s9, s9, s7
	s_mul_hi_u32 s7, s28, s9
	s_cmp_eq_u64 s[4:5], 0
	s_cbranch_scc1 .LBB43_5
; %bb.4:
	v_mov_b32_e32 v0, 0
	global_load_dword v12, v0, s[4:5]
.LBB43_5:
	s_load_dwordx2 s[4:5], s[26:27], 0x30
	s_load_dword s8, s[26:27], 0x28
	s_waitcnt lgkmcnt(0)
	s_cmp_eq_u64 s[4:5], 0
	v_mov_b32_e32 v13, s8
	s_cbranch_scc1 .LBB43_7
; %bb.6:
	v_mov_b32_e32 v0, 0
	global_load_dword v13, v0, s[4:5]
.LBB43_7:
	s_mul_i32 s4, s7, s6
	s_sub_i32 s4, s28, s4
	s_add_i32 s5, s7, 1
	s_sub_i32 s8, s4, s6
	s_cmp_ge_u32 s4, s6
	s_cselect_b32 s5, s5, s7
	s_cselect_b32 s4, s8, s4
	s_add_i32 s7, s5, 1
	s_cmp_ge_u32 s4, s6
	s_cselect_b32 s4, s7, s5
	s_mul_i32 s30, s4, s6
	s_sub_i32 s5, s28, s30
	v_and_b32_e32 v8, 15, v41
	v_lshl_or_b32 v1, s5, 4, v8
	v_cmp_gt_u32_e32 vcc, s12, v1
	s_and_saveexec_b64 s[6:7], vcc
	s_cbranch_execz .LBB43_54
; %bb.8:
	v_lshrrev_b32_e32 v0, 2, v41
	s_lshl_b32 s12, s4, 6
	v_and_b32_e32 v10, 0xfc, v0
	s_load_dwordx4 s[20:23], s[26:27], 0x48
	v_add_u32_e32 v9, s12, v10
	v_add_u32_e32 v11, 4, v9
	v_sub_u32_e64 v0, v11, s13 clamp
	s_load_dwordx4 s[16:19], s[26:27], 0x0
	s_load_dwordx2 s[24:25], s[26:27], 0x10
	v_sub_u32_e32 v4, v9, v0
	v_mad_u64_u32 v[2:3], s[4:5], v1, s14, v[4:5]
	s_waitcnt lgkmcnt(0)
	s_bitcmp1_b32 s22, 0
	s_cselect_b64 vcc, -1, 0
	s_cmp_lg_u64 s[18:19], 0
	s_mul_i32 s21, s21, s29
	s_cselect_b64 s[10:11], -1, 0
	s_cmp_eq_u64 s[18:19], 0
	v_mov_b32_e32 v14, 0
	v_mov_b32_e32 v15, 0
	s_cbranch_scc1 .LBB43_10
; %bb.9:
	v_mad_u64_u32 v[5:6], s[4:5], v4, s14, v[1:2]
	v_mov_b32_e32 v6, 0
	v_mov_b32_e32 v3, s19
	v_cndmask_b32_e32 v5, v5, v2, vcc
	v_add_u32_e32 v5, s21, v5
	v_lshlrev_b64 v[5:6], 1, v[5:6]
	v_add_co_u32_e64 v5, s[4:5], s18, v5
	v_addc_co_u32_e64 v6, s[4:5], v3, v6, s[4:5]
	global_load_ushort v3, v[5:6], off
	s_waitcnt vmcnt(0)
	v_cvt_f32_f16_e32 v15, v3
.LBB43_10:
	s_load_dword s6, s[26:27], 0x50
	s_xor_b64 s[8:9], vcc, -1
	v_mad_u64_u32 v[5:6], s[4:5], v1, s15, v[4:5]
	v_mul_lo_u32 v16, v4, s15
	s_waitcnt lgkmcnt(0)
	s_bitcmp1_b32 s6, 8
	s_cselect_b64 s[6:7], -1, 0
	s_cmp_lg_u64 s[24:25], 0
	s_cselect_b64 s[22:23], -1, 0
	s_cmp_eq_u64 s[24:25], 0
	s_cbranch_scc1 .LBB43_12
; %bb.11:
	v_add_u32_e32 v3, v16, v1
	v_cndmask_b32_e64 v3, v5, v3, s[6:7]
	v_add_u32_e32 v6, s21, v3
	v_mov_b32_e32 v7, 0
	v_lshlrev_b64 v[6:7], 1, v[6:7]
	v_mov_b32_e32 v3, s25
	v_add_co_u32_e32 v6, vcc, s24, v6
	v_addc_co_u32_e32 v7, vcc, v3, v7, vcc
	global_load_ushort v3, v[6:7], off
	s_waitcnt vmcnt(0)
	v_cvt_f32_f16_e32 v14, v3
.LBB43_12:
	v_cndmask_b32_e64 v3, 0, 1, s[8:9]
	v_cmp_ne_u32_e64 s[4:5], 1, v3
	s_andn2_b64 vcc, exec, s[8:9]
	s_cbranch_vccnz .LBB43_14
; %bb.13:
	v_mul_lo_u32 v3, s14, v4
	v_add3_u32 v3, v3, s14, v1
	s_xor_b64 s[8:9], s[6:7], -1
	s_cbranch_execz .LBB43_15
	s_branch .LBB43_16
.LBB43_14:
                                        ; implicit-def: $vgpr3
	s_xor_b64 s[8:9], s[6:7], -1
.LBB43_15:
	v_add_u32_e32 v3, 1, v2
.LBB43_16:
	v_cndmask_b32_e64 v6, 0, 1, s[8:9]
	v_cmp_ne_u32_e64 s[6:7], 1, v6
	s_andn2_b64 vcc, exec, s[8:9]
	s_cbranch_vccnz .LBB43_18
; %bb.17:
	v_add_u32_e32 v6, 1, v5
	s_cbranch_execz .LBB43_19
	s_branch .LBB43_20
.LBB43_18:
                                        ; implicit-def: $vgpr6
.LBB43_19:
	v_add3_u32 v6, v16, s15, v1
.LBB43_20:
	v_cndmask_b32_e64 v7, 0, 1, s[10:11]
	v_mov_b32_e32 v17, 0
	v_cmp_ne_u32_e64 s[8:9], 1, v7
	s_andn2_b64 vcc, exec, s[10:11]
	v_mov_b32_e32 v18, 0
	s_cbranch_vccnz .LBB43_22
; %bb.21:
	v_add_u32_e32 v18, s21, v3
	v_mov_b32_e32 v19, 0
	v_lshlrev_b64 v[18:19], 1, v[18:19]
	v_mov_b32_e32 v3, s19
	v_add_co_u32_e32 v18, vcc, s18, v18
	v_addc_co_u32_e32 v19, vcc, v3, v19, vcc
	global_load_ushort v3, v[18:19], off
	s_waitcnt vmcnt(0)
	v_cvt_f32_f16_e32 v18, v3
.LBB43_22:
	v_cndmask_b32_e64 v3, 0, 1, s[22:23]
	v_cmp_ne_u32_e64 s[10:11], 1, v3
	s_andn2_b64 vcc, exec, s[22:23]
	s_cbranch_vccnz .LBB43_24
; %bb.23:
	v_add_u32_e32 v6, s21, v6
	v_mov_b32_e32 v7, 0
	v_lshlrev_b64 v[6:7], 1, v[6:7]
	v_mov_b32_e32 v3, s25
	v_add_co_u32_e32 v6, vcc, s24, v6
	v_addc_co_u32_e32 v7, vcc, v3, v7, vcc
	global_load_ushort v3, v[6:7], off
	s_waitcnt vmcnt(0)
	v_cvt_f32_f16_e32 v17, v3
.LBB43_24:
	s_and_b64 vcc, exec, s[4:5]
	s_cbranch_vccnz .LBB43_26
; %bb.25:
	v_add_u32_e32 v3, 2, v4
	v_mad_u64_u32 v[6:7], s[22:23], v3, s14, v[1:2]
	s_cbranch_execz .LBB43_27
	s_branch .LBB43_28
.LBB43_26:
                                        ; implicit-def: $vgpr6
.LBB43_27:
	v_add_u32_e32 v6, 2, v2
.LBB43_28:
	s_and_b64 vcc, exec, s[6:7]
	s_cbranch_vccnz .LBB43_30
; %bb.29:
	v_add_u32_e32 v3, 2, v5
	s_cbranch_execz .LBB43_31
	s_branch .LBB43_32
.LBB43_30:
                                        ; implicit-def: $vgpr3
.LBB43_31:
	s_lshl_b32 s22, s15, 1
	v_add3_u32 v3, v16, s22, v1
.LBB43_32:
	v_mov_b32_e32 v7, 0
	s_and_b64 vcc, exec, s[8:9]
	v_mov_b32_e32 v19, 0
	s_cbranch_vccnz .LBB43_34
; %bb.33:
	v_add_u32_e32 v19, s21, v6
	v_mov_b32_e32 v20, 0
	v_lshlrev_b64 v[19:20], 1, v[19:20]
	v_mov_b32_e32 v6, s19
	v_add_co_u32_e32 v19, vcc, s18, v19
	v_addc_co_u32_e32 v20, vcc, v6, v20, vcc
	global_load_ushort v6, v[19:20], off
	s_waitcnt vmcnt(0)
	v_cvt_f32_f16_e32 v19, v6
.LBB43_34:
	s_and_b64 vcc, exec, s[10:11]
	s_cbranch_vccnz .LBB43_36
; %bb.35:
	v_add_u32_e32 v6, s21, v3
	v_mov_b32_e32 v7, 0
	v_lshlrev_b64 v[6:7], 1, v[6:7]
	v_mov_b32_e32 v3, s25
	v_add_co_u32_e32 v6, vcc, s24, v6
	v_addc_co_u32_e32 v7, vcc, v3, v7, vcc
	global_load_ushort v3, v[6:7], off
	s_waitcnt vmcnt(0)
	v_cvt_f32_f16_e32 v7, v3
.LBB43_36:
	s_and_b64 vcc, exec, s[4:5]
	s_cbranch_vccnz .LBB43_38
; %bb.37:
	v_add_u32_e32 v3, 3, v4
	v_mad_u64_u32 v[3:4], s[4:5], v3, s14, v[1:2]
	s_cbranch_execz .LBB43_39
	s_branch .LBB43_40
.LBB43_38:
                                        ; implicit-def: $vgpr3
.LBB43_39:
	v_add_u32_e32 v3, 3, v2
.LBB43_40:
	s_and_b64 vcc, exec, s[6:7]
	s_cbranch_vccnz .LBB43_42
; %bb.41:
	v_add_u32_e32 v2, 3, v5
	s_cbranch_execz .LBB43_43
	s_branch .LBB43_44
.LBB43_42:
                                        ; implicit-def: $vgpr2
.LBB43_43:
	s_mul_i32 s4, s15, 3
	v_add3_u32 v2, v16, s4, v1
.LBB43_44:
	v_mov_b32_e32 v6, 0
	s_and_b64 vcc, exec, s[8:9]
	v_mov_b32_e32 v16, 0
	s_cbranch_vccnz .LBB43_46
; %bb.45:
	v_add_u32_e32 v3, s21, v3
	v_mov_b32_e32 v4, 0
	v_lshlrev_b64 v[3:4], 1, v[3:4]
	v_mov_b32_e32 v5, s19
	v_add_co_u32_e32 v3, vcc, s18, v3
	v_addc_co_u32_e32 v4, vcc, v5, v4, vcc
	global_load_ushort v3, v[3:4], off
	s_waitcnt vmcnt(0)
	v_cvt_f32_f16_e32 v16, v3
.LBB43_46:
	s_and_b64 vcc, exec, s[10:11]
	s_cbranch_vccnz .LBB43_48
; %bb.47:
	v_add_u32_e32 v2, s21, v2
	v_mov_b32_e32 v3, 0
	v_lshlrev_b64 v[2:3], 1, v[2:3]
	v_mov_b32_e32 v4, s25
	v_add_co_u32_e32 v2, vcc, s24, v2
	v_addc_co_u32_e32 v3, vcc, v4, v3, vcc
	global_load_ushort v2, v[2:3], off
	s_waitcnt vmcnt(0)
	v_cvt_f32_f16_e32 v6, v2
.LBB43_48:
	s_waitcnt vmcnt(0)
	v_mul_f32_e32 v2, v13, v14
	v_fma_mixlo_f16 v5, v12, v15, v2
	v_mul_f32_e32 v2, v13, v17
	v_fma_mixlo_f16 v4, v12, v18, v2
	;; [unrolled: 2-line block ×4, first 2 shown]
	v_cmp_ge_u32_e32 vcc, s13, v11
	s_and_saveexec_b64 s[4:5], vcc
	s_xor_b64 s[4:5], exec, s[4:5]
	s_cbranch_execz .LBB43_50
; %bb.49:
	v_mul_lo_u32 v6, v1, s20
	v_mov_b32_e32 v1, 0
	v_mov_b32_e32 v8, s17
                                        ; implicit-def: $vgpr10
                                        ; implicit-def: $vgpr11
	v_add3_u32 v6, v9, s21, v6
	v_sub_u32_e32 v0, v6, v0
	v_lshlrev_b64 v[6:7], 1, v[0:1]
                                        ; implicit-def: $vgpr9
	v_add_co_u32_e32 v6, vcc, s16, v6
	v_addc_co_u32_e32 v7, vcc, v8, v7, vcc
	global_store_short v[6:7], v5, off
	v_add_u32_e32 v5, 1, v0
	v_mov_b32_e32 v6, v1
	v_lshlrev_b64 v[5:6], 1, v[5:6]
	v_mov_b32_e32 v7, s17
	v_add_co_u32_e32 v5, vcc, s16, v5
	v_addc_co_u32_e32 v6, vcc, v7, v6, vcc
	global_store_short v[5:6], v4, off
	v_add_u32_e32 v4, 2, v0
	v_mov_b32_e32 v5, v1
	v_lshlrev_b64 v[4:5], 1, v[4:5]
	v_add_u32_e32 v0, 3, v0
	v_mov_b32_e32 v6, s17
	v_add_co_u32_e32 v4, vcc, s16, v4
	v_lshlrev_b64 v[0:1], 1, v[0:1]
	v_addc_co_u32_e32 v5, vcc, v6, v5, vcc
	global_store_short v[4:5], v3, off
	v_mov_b32_e32 v3, s17
	v_add_co_u32_e32 v0, vcc, s16, v0
	v_addc_co_u32_e32 v1, vcc, v3, v1, vcc
	global_store_short v[0:1], v2, off
                                        ; implicit-def: $vgpr8
                                        ; implicit-def: $vgpr0
                                        ; implicit-def: $vgpr5
                                        ; implicit-def: $vgpr4
                                        ; implicit-def: $vgpr3
                                        ; implicit-def: $vgpr2
.LBB43_50:
	s_andn2_saveexec_b64 s[4:5], s[4:5]
	s_cbranch_execz .LBB43_54
; %bb.51:
	v_cmp_gt_u32_e32 vcc, 4, v0
	s_and_b64 exec, exec, vcc
	s_cbranch_execz .LBB43_54
; %bb.52:
	s_mov_b32 s4, 0x5040100
	v_perm_b32 v3, v2, v3, s4
	v_perm_b32 v2, v4, v5, s4
	v_lshl_or_b32 v4, s28, 4, v8
	s_lshl_b32 s4, s30, 4
	v_subrev_u32_e32 v4, s4, v4
	v_mul_lo_u32 v4, s20, v4
	v_min_u32_e32 v1, s13, v11
	v_sub_u32_e32 v1, v9, v1
	v_add_u32_e32 v6, 3, v1
	s_add_i32 s12, s12, s21
	v_mov_b32_e32 v1, 0
	v_add3_u32 v8, s12, v4, v10
	v_mov_b32_e32 v5, v1
	s_mov_b64 s[6:7], 0
	v_mov_b32_e32 v7, s17
	v_mov_b32_e32 v4, v0
	;; [unrolled: 1-line block ×3, first 2 shown]
.LBB43_53:                              ; =>This Inner Loop Header: Depth=1
	v_lshlrev_b32_e32 v10, 4, v4
	v_lshlrev_b64 v[8:9], 1, v[0:1]
	v_add_co_u32_e32 v4, vcc, 1, v4
	v_add_u32_e32 v6, 1, v6
	v_addc_co_u32_e32 v5, vcc, 0, v5, vcc
	v_lshrrev_b64 v[10:11], v10, v[2:3]
	v_cmp_lt_u32_e32 vcc, 2, v6
	v_add_co_u32_e64 v8, s[4:5], s16, v8
	v_add_u32_e32 v0, 1, v0
	v_addc_co_u32_e64 v9, s[4:5], v7, v9, s[4:5]
	s_or_b64 s[6:7], vcc, s[6:7]
	global_store_short v[8:9], v10, off
	s_andn2_b64 exec, exec, s[6:7]
	s_cbranch_execnz .LBB43_53
.LBB43_54:
	s_endpgm
	.section	.rodata,"a",@progbits
	.p2align	6, 0x0
	.amdhsa_kernel Transform_H_S_011_16_16_VW_4
		.amdhsa_group_segment_fixed_size 0
		.amdhsa_private_segment_fixed_size 64
		.amdhsa_kernarg_size 344
		.amdhsa_user_sgpr_count 8
		.amdhsa_user_sgpr_private_segment_buffer 1
		.amdhsa_user_sgpr_dispatch_ptr 0
		.amdhsa_user_sgpr_queue_ptr 0
		.amdhsa_user_sgpr_kernarg_segment_ptr 1
		.amdhsa_user_sgpr_dispatch_id 0
		.amdhsa_user_sgpr_flat_scratch_init 1
		.amdhsa_user_sgpr_private_segment_size 0
		.amdhsa_uses_dynamic_stack 0
		.amdhsa_system_sgpr_private_segment_wavefront_offset 1
		.amdhsa_system_sgpr_workgroup_id_x 1
		.amdhsa_system_sgpr_workgroup_id_y 0
		.amdhsa_system_sgpr_workgroup_id_z 1
		.amdhsa_system_sgpr_workgroup_info 0
		.amdhsa_system_vgpr_workitem_id 0
		.amdhsa_next_free_vgpr 42
		.amdhsa_next_free_sgpr 34
		.amdhsa_reserve_vcc 1
		.amdhsa_reserve_flat_scratch 1
		.amdhsa_float_round_mode_32 0
		.amdhsa_float_round_mode_16_64 0
		.amdhsa_float_denorm_mode_32 3
		.amdhsa_float_denorm_mode_16_64 3
		.amdhsa_dx10_clamp 1
		.amdhsa_ieee_mode 1
		.amdhsa_fp16_overflow 0
		.amdhsa_exception_fp_ieee_invalid_op 0
		.amdhsa_exception_fp_denorm_src 0
		.amdhsa_exception_fp_ieee_div_zero 0
		.amdhsa_exception_fp_ieee_overflow 0
		.amdhsa_exception_fp_ieee_underflow 0
		.amdhsa_exception_fp_ieee_inexact 0
		.amdhsa_exception_int_div_zero 0
	.end_amdhsa_kernel
	.text
.Lfunc_end43:
	.size	Transform_H_S_011_16_16_VW_4, .Lfunc_end43-Transform_H_S_011_16_16_VW_4
                                        ; -- End function
	.set Transform_H_S_011_16_16_VW_4.num_vgpr, max(42, .L__assert_fail.num_vgpr)
	.set Transform_H_S_011_16_16_VW_4.num_agpr, max(0, .L__assert_fail.num_agpr)
	.set Transform_H_S_011_16_16_VW_4.numbered_sgpr, max(33, .L__assert_fail.numbered_sgpr)
	.set Transform_H_S_011_16_16_VW_4.num_named_barrier, max(0, .L__assert_fail.num_named_barrier)
	.set Transform_H_S_011_16_16_VW_4.private_seg_size, 0+max(.L__assert_fail.private_seg_size)
	.set Transform_H_S_011_16_16_VW_4.uses_vcc, or(1, .L__assert_fail.uses_vcc)
	.set Transform_H_S_011_16_16_VW_4.uses_flat_scratch, or(1, .L__assert_fail.uses_flat_scratch)
	.set Transform_H_S_011_16_16_VW_4.has_dyn_sized_stack, or(0, .L__assert_fail.has_dyn_sized_stack)
	.set Transform_H_S_011_16_16_VW_4.has_recursion, or(0, .L__assert_fail.has_recursion)
	.set Transform_H_S_011_16_16_VW_4.has_indirect_call, or(0, .L__assert_fail.has_indirect_call)
	.section	.AMDGPU.csdata,"",@progbits
; Kernel info:
; codeLenInByte = 1688
; TotalNumSgprs: 40
; NumVgprs: 42
; ScratchSize: 64
; MemoryBound: 0
; FloatMode: 240
; IeeeMode: 1
; LDSByteSize: 0 bytes/workgroup (compile time only)
; SGPRBlocks: 4
; VGPRBlocks: 10
; NumSGPRsForWavesPerEU: 40
; NumVGPRsForWavesPerEU: 42
; Occupancy: 5
; WaveLimiterHint : 1
; COMPUTE_PGM_RSRC2:SCRATCH_EN: 1
; COMPUTE_PGM_RSRC2:USER_SGPR: 8
; COMPUTE_PGM_RSRC2:TRAP_HANDLER: 0
; COMPUTE_PGM_RSRC2:TGID_X_EN: 1
; COMPUTE_PGM_RSRC2:TGID_Y_EN: 0
; COMPUTE_PGM_RSRC2:TGID_Z_EN: 1
; COMPUTE_PGM_RSRC2:TIDIG_COMP_CNT: 0
	.text
	.protected	Transform_H_S_010_16_16_VW_1 ; -- Begin function Transform_H_S_010_16_16_VW_1
	.globl	Transform_H_S_010_16_16_VW_1
	.p2align	8
	.type	Transform_H_S_010_16_16_VW_1,@function
Transform_H_S_010_16_16_VW_1:           ; @Transform_H_S_010_16_16_VW_1
; %bb.0:
	s_mov_b64 s[26:27], s[4:5]
	s_load_dword s4, s[4:5], 0x64
	s_add_u32 flat_scratch_lo, s6, s10
	s_addc_u32 flat_scratch_hi, s7, 0
	s_add_u32 s0, s0, s10
	s_addc_u32 s1, s1, 0
	s_waitcnt lgkmcnt(0)
	s_and_b32 s4, s4, 0xffff
	s_mov_b32 s28, s9
	s_mov_b32 s29, s8
	v_mov_b32_e32 v41, v0
	s_cmpk_eq_i32 s4, 0x100
	s_mov_b64 s[4:5], -1
	s_mov_b32 s32, 0
	s_cbranch_scc1 .LBB44_2
; %bb.1:
	s_add_u32 s8, s26, 0x58
	s_addc_u32 s9, s27, 0
	s_getpc_b64 s[4:5]
	s_add_u32 s4, s4, __PRETTY_FUNCTION__._ZN10amd_detail9transformIDF16_fLb0ELb1ELb0ELj16ELj16ELj1EEEvPT_PKS1_S4_T0_PKS5_S5_S7_jjjjjjbb@rel32@lo+4
	s_addc_u32 s5, s5, __PRETTY_FUNCTION__._ZN10amd_detail9transformIDF16_fLb0ELb1ELb0ELj16ELj16ELj1EEEvPT_PKS1_S4_T0_PKS5_S5_S7_jjjjjjbb@rel32@hi+12
	s_getpc_b64 s[6:7]
	s_add_u32 s6, s6, __assert_fail@rel32@lo+4
	s_addc_u32 s7, s7, __assert_fail@rel32@hi+12
	v_mov_b32_e32 v0, s4
	v_mov_b32_e32 v1, s5
	s_swappc_b64 s[30:31], s[6:7]
	s_mov_b64 s[4:5], 0
	; divergent unreachable
.LBB44_2:
	s_andn2_b64 vcc, exec, s[4:5]
	s_cbranch_vccnz .LBB44_13
; %bb.3:
	s_load_dwordx8 s[4:11], s[26:27], 0x38
	s_waitcnt lgkmcnt(0)
	s_lshr_b32 s11, s4, 4
	s_and_b32 s12, s4, 15
	s_cmp_lg_u32 s12, 0
	s_cselect_b64 s[12:13], -1, 0
	s_cmp_lg_u64 s[12:13], 0
	s_addc_u32 s11, s11, 0
	v_cvt_f32_u32_e32 v0, s11
	s_load_dword s15, s[26:27], 0x18
	s_load_dwordx2 s[12:13], s[26:27], 0x20
	s_sub_i32 s14, 0, s11
	v_rcp_iflag_f32_e32 v0, v0
	v_mul_f32_e32 v0, 0x4f7ffffe, v0
	v_cvt_u32_f32_e32 v0, v0
	v_readfirstlane_b32 s16, v0
	s_mul_i32 s14, s14, s16
	s_mul_hi_u32 s14, s16, s14
	s_add_i32 s16, s16, s14
	s_mul_hi_u32 s14, s29, s16
	s_waitcnt lgkmcnt(0)
	s_cmp_eq_u64 s[12:13], 0
	v_mov_b32_e32 v0, s15
	s_cbranch_scc1 .LBB44_5
; %bb.4:
	v_mov_b32_e32 v0, 0
	global_load_dword v0, v0, s[12:13]
.LBB44_5:
	s_load_dwordx2 s[12:13], s[26:27], 0x30
	s_load_dword s15, s[26:27], 0x28
	s_waitcnt lgkmcnt(0)
	s_cmp_eq_u64 s[12:13], 0
	v_mov_b32_e32 v1, s15
	s_cbranch_scc1 .LBB44_7
; %bb.6:
	v_mov_b32_e32 v1, 0
	global_load_dword v1, v1, s[12:13]
.LBB44_7:
	s_mul_i32 s12, s14, s11
	s_sub_i32 s12, s29, s12
	s_add_i32 s13, s14, 1
	s_sub_i32 s15, s12, s11
	s_cmp_ge_u32 s12, s11
	s_cselect_b32 s13, s13, s14
	s_cselect_b32 s12, s15, s12
	s_add_i32 s14, s13, 1
	s_cmp_ge_u32 s12, s11
	s_cselect_b32 s12, s14, s13
	s_mul_i32 s11, s12, s11
	s_sub_i32 s11, s29, s11
	v_and_b32_e32 v2, 15, v41
	v_lshrrev_b32_e32 v3, 4, v41
	v_lshl_or_b32 v2, s11, 4, v2
	v_lshl_add_u32 v3, s12, 4, v3
	v_cmp_gt_u32_e32 vcc, s4, v2
	v_cmp_gt_u32_e64 s[4:5], s5, v3
	s_and_b64 s[4:5], vcc, s[4:5]
	s_and_saveexec_b64 s[12:13], s[4:5]
	s_cbranch_execz .LBB44_13
; %bb.8:
	s_load_dwordx4 s[12:15], s[26:27], 0x0
	s_load_dwordx2 s[4:5], s[26:27], 0x10
	s_mul_i32 s9, s9, s28
	v_mov_b32_e32 v5, 0
	v_mov_b32_e32 v4, 0
	s_waitcnt lgkmcnt(0)
	s_cmp_eq_u64 s[14:15], 0
	s_cbranch_scc1 .LBB44_10
; %bb.9:
	s_bitcmp1_b32 s10, 0
	s_cselect_b64 vcc, -1, 0
	v_cndmask_b32_e32 v4, v3, v2, vcc
	v_mul_lo_u32 v4, v4, s6
	v_cndmask_b32_e32 v6, v2, v3, vcc
	v_mov_b32_e32 v7, 0
	v_add3_u32 v6, v6, s9, v4
	v_lshlrev_b64 v[6:7], 1, v[6:7]
	v_mov_b32_e32 v4, s15
	v_add_co_u32_e32 v6, vcc, s14, v6
	v_addc_co_u32_e32 v7, vcc, v4, v7, vcc
	global_load_ushort v4, v[6:7], off
	s_waitcnt vmcnt(0)
	v_cvt_f32_f16_e32 v4, v4
.LBB44_10:
	s_cmp_eq_u64 s[4:5], 0
	s_cbranch_scc1 .LBB44_12
; %bb.11:
	s_load_dword s6, s[26:27], 0x50
	v_mov_b32_e32 v6, 0
	v_mov_b32_e32 v7, s5
	s_waitcnt lgkmcnt(0)
	s_bitcmp1_b32 s6, 8
	s_cselect_b64 vcc, -1, 0
	v_cndmask_b32_e32 v5, v2, v3, vcc
	v_mul_lo_u32 v5, v5, s7
	v_cndmask_b32_e32 v8, v3, v2, vcc
	v_add3_u32 v5, v8, s9, v5
	v_lshlrev_b64 v[5:6], 1, v[5:6]
	v_add_co_u32_e32 v5, vcc, s4, v5
	v_addc_co_u32_e32 v6, vcc, v7, v6, vcc
	global_load_ushort v5, v[5:6], off
	s_waitcnt vmcnt(0)
	v_cvt_f32_f16_e32 v5, v5
.LBB44_12:
	v_mul_lo_u32 v3, v3, s8
	s_waitcnt vmcnt(0)
	v_mul_f32_e32 v5, v1, v5
	v_mov_b32_e32 v1, 0
	v_fma_mixlo_f16 v4, v0, v4, v5
	v_add3_u32 v0, v2, s9, v3
	v_lshlrev_b64 v[0:1], 1, v[0:1]
	v_mov_b32_e32 v2, s13
	v_add_co_u32_e32 v0, vcc, s12, v0
	v_addc_co_u32_e32 v1, vcc, v2, v1, vcc
	global_store_short v[0:1], v4, off
.LBB44_13:
	s_endpgm
	.section	.rodata,"a",@progbits
	.p2align	6, 0x0
	.amdhsa_kernel Transform_H_S_010_16_16_VW_1
		.amdhsa_group_segment_fixed_size 0
		.amdhsa_private_segment_fixed_size 64
		.amdhsa_kernarg_size 344
		.amdhsa_user_sgpr_count 8
		.amdhsa_user_sgpr_private_segment_buffer 1
		.amdhsa_user_sgpr_dispatch_ptr 0
		.amdhsa_user_sgpr_queue_ptr 0
		.amdhsa_user_sgpr_kernarg_segment_ptr 1
		.amdhsa_user_sgpr_dispatch_id 0
		.amdhsa_user_sgpr_flat_scratch_init 1
		.amdhsa_user_sgpr_private_segment_size 0
		.amdhsa_uses_dynamic_stack 0
		.amdhsa_system_sgpr_private_segment_wavefront_offset 1
		.amdhsa_system_sgpr_workgroup_id_x 1
		.amdhsa_system_sgpr_workgroup_id_y 0
		.amdhsa_system_sgpr_workgroup_id_z 1
		.amdhsa_system_sgpr_workgroup_info 0
		.amdhsa_system_vgpr_workitem_id 0
		.amdhsa_next_free_vgpr 42
		.amdhsa_next_free_sgpr 34
		.amdhsa_reserve_vcc 1
		.amdhsa_reserve_flat_scratch 1
		.amdhsa_float_round_mode_32 0
		.amdhsa_float_round_mode_16_64 0
		.amdhsa_float_denorm_mode_32 3
		.amdhsa_float_denorm_mode_16_64 3
		.amdhsa_dx10_clamp 1
		.amdhsa_ieee_mode 1
		.amdhsa_fp16_overflow 0
		.amdhsa_exception_fp_ieee_invalid_op 0
		.amdhsa_exception_fp_denorm_src 0
		.amdhsa_exception_fp_ieee_div_zero 0
		.amdhsa_exception_fp_ieee_overflow 0
		.amdhsa_exception_fp_ieee_underflow 0
		.amdhsa_exception_fp_ieee_inexact 0
		.amdhsa_exception_int_div_zero 0
	.end_amdhsa_kernel
	.text
.Lfunc_end44:
	.size	Transform_H_S_010_16_16_VW_1, .Lfunc_end44-Transform_H_S_010_16_16_VW_1
                                        ; -- End function
	.set Transform_H_S_010_16_16_VW_1.num_vgpr, max(42, .L__assert_fail.num_vgpr)
	.set Transform_H_S_010_16_16_VW_1.num_agpr, max(0, .L__assert_fail.num_agpr)
	.set Transform_H_S_010_16_16_VW_1.numbered_sgpr, max(33, .L__assert_fail.numbered_sgpr)
	.set Transform_H_S_010_16_16_VW_1.num_named_barrier, max(0, .L__assert_fail.num_named_barrier)
	.set Transform_H_S_010_16_16_VW_1.private_seg_size, 0+max(.L__assert_fail.private_seg_size)
	.set Transform_H_S_010_16_16_VW_1.uses_vcc, or(1, .L__assert_fail.uses_vcc)
	.set Transform_H_S_010_16_16_VW_1.uses_flat_scratch, or(1, .L__assert_fail.uses_flat_scratch)
	.set Transform_H_S_010_16_16_VW_1.has_dyn_sized_stack, or(0, .L__assert_fail.has_dyn_sized_stack)
	.set Transform_H_S_010_16_16_VW_1.has_recursion, or(0, .L__assert_fail.has_recursion)
	.set Transform_H_S_010_16_16_VW_1.has_indirect_call, or(0, .L__assert_fail.has_indirect_call)
	.section	.AMDGPU.csdata,"",@progbits
; Kernel info:
; codeLenInByte = 680
; TotalNumSgprs: 40
; NumVgprs: 42
; ScratchSize: 64
; MemoryBound: 0
; FloatMode: 240
; IeeeMode: 1
; LDSByteSize: 0 bytes/workgroup (compile time only)
; SGPRBlocks: 4
; VGPRBlocks: 10
; NumSGPRsForWavesPerEU: 40
; NumVGPRsForWavesPerEU: 42
; Occupancy: 5
; WaveLimiterHint : 1
; COMPUTE_PGM_RSRC2:SCRATCH_EN: 1
; COMPUTE_PGM_RSRC2:USER_SGPR: 8
; COMPUTE_PGM_RSRC2:TRAP_HANDLER: 0
; COMPUTE_PGM_RSRC2:TGID_X_EN: 1
; COMPUTE_PGM_RSRC2:TGID_Y_EN: 0
; COMPUTE_PGM_RSRC2:TGID_Z_EN: 1
; COMPUTE_PGM_RSRC2:TIDIG_COMP_CNT: 0
	.text
	.protected	Transform_H_S_010_16_16_VW_4 ; -- Begin function Transform_H_S_010_16_16_VW_4
	.globl	Transform_H_S_010_16_16_VW_4
	.p2align	8
	.type	Transform_H_S_010_16_16_VW_4,@function
Transform_H_S_010_16_16_VW_4:           ; @Transform_H_S_010_16_16_VW_4
; %bb.0:
	s_mov_b64 s[26:27], s[4:5]
	s_load_dword s4, s[4:5], 0x64
	s_add_u32 flat_scratch_lo, s6, s10
	s_addc_u32 flat_scratch_hi, s7, 0
	s_add_u32 s0, s0, s10
	s_addc_u32 s1, s1, 0
	s_waitcnt lgkmcnt(0)
	s_and_b32 s4, s4, 0xffff
	s_mov_b32 s29, s9
	s_mov_b32 s28, s8
	v_mov_b32_e32 v41, v0
	s_cmpk_eq_i32 s4, 0x100
	s_mov_b64 s[4:5], -1
	s_mov_b32 s32, 0
	s_cbranch_scc1 .LBB45_2
; %bb.1:
	s_add_u32 s8, s26, 0x58
	s_addc_u32 s9, s27, 0
	s_getpc_b64 s[4:5]
	s_add_u32 s4, s4, __PRETTY_FUNCTION__._ZN10amd_detail9transformIDF16_fLb0ELb1ELb0ELj16ELj16ELj4EEEvPT_PKS1_S4_T0_PKS5_S5_S7_jjjjjjbb@rel32@lo+4
	s_addc_u32 s5, s5, __PRETTY_FUNCTION__._ZN10amd_detail9transformIDF16_fLb0ELb1ELb0ELj16ELj16ELj4EEEvPT_PKS1_S4_T0_PKS5_S5_S7_jjjjjjbb@rel32@hi+12
	s_getpc_b64 s[6:7]
	s_add_u32 s6, s6, __assert_fail@rel32@lo+4
	s_addc_u32 s7, s7, __assert_fail@rel32@hi+12
	v_mov_b32_e32 v0, s4
	v_mov_b32_e32 v1, s5
	s_swappc_b64 s[30:31], s[6:7]
	s_mov_b64 s[4:5], 0
	; divergent unreachable
.LBB45_2:
	s_andn2_b64 vcc, exec, s[4:5]
	s_cbranch_vccnz .LBB45_54
; %bb.3:
	s_load_dwordx8 s[12:19], s[26:27], 0x38
	s_waitcnt lgkmcnt(0)
	s_lshr_b32 s6, s12, 6
	s_and_b32 s4, s12, 63
	s_cmp_lg_u32 s4, 0
	s_cselect_b64 s[4:5], -1, 0
	s_cmp_lg_u64 s[4:5], 0
	s_addc_u32 s6, s6, 0
	v_cvt_f32_u32_e32 v0, s6
	s_load_dword s8, s[26:27], 0x18
	s_load_dwordx2 s[4:5], s[26:27], 0x20
	s_sub_i32 s7, 0, s6
	v_rcp_iflag_f32_e32 v0, v0
	s_waitcnt lgkmcnt(0)
	v_mov_b32_e32 v8, s8
	v_mul_f32_e32 v0, 0x4f7ffffe, v0
	v_cvt_u32_f32_e32 v0, v0
	v_readfirstlane_b32 s9, v0
	s_mul_i32 s7, s7, s9
	s_mul_hi_u32 s7, s9, s7
	s_add_i32 s9, s9, s7
	s_mul_hi_u32 s7, s28, s9
	s_cmp_eq_u64 s[4:5], 0
	s_cbranch_scc1 .LBB45_5
; %bb.4:
	v_mov_b32_e32 v0, 0
	global_load_dword v8, v0, s[4:5]
.LBB45_5:
	s_load_dwordx2 s[4:5], s[26:27], 0x30
	s_load_dword s8, s[26:27], 0x28
	s_waitcnt lgkmcnt(0)
	s_cmp_eq_u64 s[4:5], 0
	v_mov_b32_e32 v11, s8
	s_cbranch_scc1 .LBB45_7
; %bb.6:
	v_mov_b32_e32 v0, 0
	global_load_dword v11, v0, s[4:5]
.LBB45_7:
	s_mul_i32 s4, s7, s6
	s_sub_i32 s4, s28, s4
	s_add_i32 s5, s7, 1
	s_sub_i32 s8, s4, s6
	s_cmp_ge_u32 s4, s6
	s_cselect_b32 s5, s5, s7
	s_cselect_b32 s4, s8, s4
	s_add_i32 s7, s5, 1
	s_cmp_ge_u32 s4, s6
	s_cselect_b32 s30, s7, s5
	v_lshrrev_b32_e32 v0, 4, v41
	v_lshl_add_u32 v0, s30, 4, v0
	v_cmp_gt_u32_e32 vcc, s13, v0
	s_and_saveexec_b64 s[4:5], vcc
	s_cbranch_execz .LBB45_54
; %bb.8:
	s_mul_i32 s30, s30, s6
	v_lshlrev_b32_e32 v1, 2, v41
	s_sub_i32 s4, s28, s30
	v_and_b32_e32 v9, 60, v1
	v_lshl_or_b32 v12, s4, 6, v9
	v_add_u32_e32 v13, 4, v12
	s_load_dwordx4 s[20:23], s[26:27], 0x0
	s_load_dwordx2 s[24:25], s[26:27], 0x10
	v_sub_u32_e64 v10, v13, s12 clamp
	v_sub_u32_e32 v1, v12, v10
	v_mad_u64_u32 v[4:5], s[4:5], v0, s14, v[1:2]
	s_bitcmp1_b32 s18, 0
	s_cselect_b64 vcc, -1, 0
	s_waitcnt lgkmcnt(0)
	s_cmp_lg_u64 s[22:23], 0
	s_mul_i32 s13, s17, s29
	s_cselect_b64 s[10:11], -1, 0
	s_cmp_eq_u64 s[22:23], 0
	v_mov_b32_e32 v15, 0
	v_mov_b32_e32 v14, 0
	s_cbranch_scc1 .LBB45_10
; %bb.9:
	v_mad_u64_u32 v[2:3], s[4:5], v1, s14, v[0:1]
	v_mov_b32_e32 v3, 0
	v_mov_b32_e32 v5, s23
	v_cndmask_b32_e32 v2, v4, v2, vcc
	v_add_u32_e32 v2, s13, v2
	v_lshlrev_b64 v[2:3], 1, v[2:3]
	v_add_co_u32_e64 v2, s[4:5], s22, v2
	v_addc_co_u32_e64 v3, s[4:5], v5, v3, s[4:5]
	global_load_ushort v2, v[2:3], off
	s_waitcnt vmcnt(0)
	v_cvt_f32_f16_e32 v14, v2
.LBB45_10:
	s_load_dword s6, s[26:27], 0x50
	s_xor_b64 s[8:9], vcc, -1
	v_mad_u64_u32 v[2:3], s[4:5], v0, s15, v[1:2]
	s_waitcnt lgkmcnt(0)
	s_bitcmp1_b32 s6, 8
	s_cselect_b64 s[6:7], -1, 0
	s_cmp_lg_u64 s[24:25], 0
	s_cselect_b64 s[18:19], -1, 0
	s_cmp_eq_u64 s[24:25], 0
	s_cbranch_scc1 .LBB45_12
; %bb.11:
	v_mad_u64_u32 v[5:6], s[4:5], v1, s15, v[0:1]
	v_mov_b32_e32 v6, 0
	v_mov_b32_e32 v3, s25
	v_cndmask_b32_e64 v5, v5, v2, s[6:7]
	v_add_u32_e32 v5, s13, v5
	v_lshlrev_b64 v[5:6], 1, v[5:6]
	v_add_co_u32_e32 v5, vcc, s24, v5
	v_addc_co_u32_e32 v6, vcc, v3, v6, vcc
	global_load_ushort v3, v[5:6], off
	s_waitcnt vmcnt(0)
	v_cvt_f32_f16_e32 v15, v3
.LBB45_12:
	v_cndmask_b32_e64 v3, 0, 1, s[8:9]
	v_cmp_ne_u32_e64 s[4:5], 1, v3
	s_andn2_b64 vcc, exec, s[8:9]
	s_cbranch_vccnz .LBB45_14
; %bb.13:
	v_add_u32_e32 v3, 1, v4
	s_xor_b64 s[8:9], s[6:7], -1
	s_cbranch_execz .LBB45_15
	s_branch .LBB45_16
.LBB45_14:
                                        ; implicit-def: $vgpr3
	s_xor_b64 s[8:9], s[6:7], -1
.LBB45_15:
	v_mul_lo_u32 v3, s14, v1
	v_add3_u32 v3, v3, s14, v0
.LBB45_16:
	v_cndmask_b32_e64 v5, 0, 1, s[8:9]
	v_cmp_ne_u32_e64 s[6:7], 1, v5
	s_andn2_b64 vcc, exec, s[8:9]
	s_cbranch_vccnz .LBB45_18
; %bb.17:
	v_mul_lo_u32 v5, s15, v1
	v_add3_u32 v5, v5, s15, v0
	s_cbranch_execz .LBB45_19
	s_branch .LBB45_20
.LBB45_18:
                                        ; implicit-def: $vgpr5
.LBB45_19:
	v_add_u32_e32 v5, 1, v2
.LBB45_20:
	v_cndmask_b32_e64 v6, 0, 1, s[10:11]
	v_mov_b32_e32 v16, 0
	v_cmp_ne_u32_e64 s[8:9], 1, v6
	s_andn2_b64 vcc, exec, s[10:11]
	v_mov_b32_e32 v17, 0
	s_cbranch_vccnz .LBB45_22
; %bb.21:
	v_add_u32_e32 v6, s13, v3
	v_mov_b32_e32 v7, 0
	v_lshlrev_b64 v[6:7], 1, v[6:7]
	v_mov_b32_e32 v3, s23
	v_add_co_u32_e32 v6, vcc, s22, v6
	v_addc_co_u32_e32 v7, vcc, v3, v7, vcc
	global_load_ushort v3, v[6:7], off
	s_waitcnt vmcnt(0)
	v_cvt_f32_f16_e32 v17, v3
.LBB45_22:
	v_cndmask_b32_e64 v3, 0, 1, s[18:19]
	v_cmp_ne_u32_e64 s[10:11], 1, v3
	s_andn2_b64 vcc, exec, s[18:19]
	s_cbranch_vccnz .LBB45_24
; %bb.23:
	v_add_u32_e32 v5, s13, v5
	v_mov_b32_e32 v6, 0
	v_lshlrev_b64 v[5:6], 1, v[5:6]
	v_mov_b32_e32 v3, s25
	v_add_co_u32_e32 v5, vcc, s24, v5
	v_addc_co_u32_e32 v6, vcc, v3, v6, vcc
	global_load_ushort v3, v[5:6], off
	s_waitcnt vmcnt(0)
	v_cvt_f32_f16_e32 v16, v3
.LBB45_24:
	s_and_b64 vcc, exec, s[4:5]
	s_cbranch_vccnz .LBB45_26
; %bb.25:
	v_add_u32_e32 v5, 2, v4
	v_add_u32_e32 v3, 2, v1
	s_cbranch_execz .LBB45_27
	s_branch .LBB45_28
.LBB45_26:
                                        ; implicit-def: $vgpr5
	v_add_u32_e32 v3, 2, v1
.LBB45_27:
	v_mad_u64_u32 v[5:6], s[18:19], v3, s14, v[0:1]
.LBB45_28:
	s_and_b64 vcc, exec, s[6:7]
	s_cbranch_vccnz .LBB45_30
; %bb.29:
	v_mad_u64_u32 v[6:7], s[18:19], v3, s15, v[0:1]
	s_cbranch_execz .LBB45_31
	s_branch .LBB45_32
.LBB45_30:
                                        ; implicit-def: $vgpr6
.LBB45_31:
	v_add_u32_e32 v6, 2, v2
.LBB45_32:
	v_mov_b32_e32 v7, 0
	s_and_b64 vcc, exec, s[8:9]
	v_mov_b32_e32 v18, 0
	s_cbranch_vccnz .LBB45_34
; %bb.33:
	v_add_u32_e32 v18, s13, v5
	v_mov_b32_e32 v19, 0
	v_lshlrev_b64 v[18:19], 1, v[18:19]
	v_mov_b32_e32 v3, s23
	v_add_co_u32_e32 v18, vcc, s22, v18
	v_addc_co_u32_e32 v19, vcc, v3, v19, vcc
	global_load_ushort v3, v[18:19], off
	s_waitcnt vmcnt(0)
	v_cvt_f32_f16_e32 v18, v3
.LBB45_34:
	s_and_b64 vcc, exec, s[10:11]
	s_cbranch_vccnz .LBB45_36
; %bb.35:
	v_add_u32_e32 v5, s13, v6
	v_mov_b32_e32 v6, 0
	v_lshlrev_b64 v[5:6], 1, v[5:6]
	v_mov_b32_e32 v3, s25
	v_add_co_u32_e32 v5, vcc, s24, v5
	v_addc_co_u32_e32 v6, vcc, v3, v6, vcc
	global_load_ushort v3, v[5:6], off
	s_waitcnt vmcnt(0)
	v_cvt_f32_f16_e32 v7, v3
.LBB45_36:
	s_and_b64 vcc, exec, s[4:5]
	s_cbranch_vccnz .LBB45_38
; %bb.37:
	v_add_u32_e32 v3, 3, v4
	v_add_u32_e32 v1, 3, v1
	s_cbranch_execz .LBB45_39
	s_branch .LBB45_40
.LBB45_38:
                                        ; implicit-def: $vgpr3
	v_add_u32_e32 v1, 3, v1
.LBB45_39:
	v_mad_u64_u32 v[3:4], s[4:5], v1, s14, v[0:1]
.LBB45_40:
	s_and_b64 vcc, exec, s[6:7]
	s_cbranch_vccnz .LBB45_42
; %bb.41:
	v_mad_u64_u32 v[4:5], s[4:5], v1, s15, v[0:1]
	s_cbranch_execz .LBB45_43
	s_branch .LBB45_44
.LBB45_42:
                                        ; implicit-def: $vgpr4
.LBB45_43:
	v_add_u32_e32 v4, 3, v2
.LBB45_44:
	v_mov_b32_e32 v5, 0
	s_and_b64 vcc, exec, s[8:9]
	v_mov_b32_e32 v6, 0
	s_cbranch_vccnz .LBB45_46
; %bb.45:
	v_add_u32_e32 v1, s13, v3
	v_mov_b32_e32 v2, 0
	v_lshlrev_b64 v[1:2], 1, v[1:2]
	v_mov_b32_e32 v3, s23
	v_add_co_u32_e32 v1, vcc, s22, v1
	v_addc_co_u32_e32 v2, vcc, v3, v2, vcc
	global_load_ushort v1, v[1:2], off
	s_waitcnt vmcnt(0)
	v_cvt_f32_f16_e32 v6, v1
.LBB45_46:
	s_and_b64 vcc, exec, s[10:11]
	s_cbranch_vccnz .LBB45_48
; %bb.47:
	v_add_u32_e32 v1, s13, v4
	v_mov_b32_e32 v2, 0
	v_lshlrev_b64 v[1:2], 1, v[1:2]
	v_mov_b32_e32 v3, s25
	v_add_co_u32_e32 v1, vcc, s24, v1
	v_addc_co_u32_e32 v2, vcc, v3, v2, vcc
	global_load_ushort v1, v[1:2], off
	s_waitcnt vmcnt(0)
	v_cvt_f32_f16_e32 v5, v1
.LBB45_48:
	s_waitcnt vmcnt(0)
	v_mul_f32_e32 v1, v11, v15
	v_mul_lo_u32 v4, v0, s16
	v_fma_mixlo_f16 v3, v8, v14, v1
	v_mul_f32_e32 v1, v11, v16
	v_fma_mixlo_f16 v2, v8, v17, v1
	v_mul_f32_e32 v1, v11, v7
	v_mul_f32_e32 v0, v11, v5
	v_fma_mixlo_f16 v1, v8, v18, v1
	v_fma_mixlo_f16 v0, v8, v6, v0
	v_cmp_ge_u32_e32 vcc, s12, v13
	s_and_saveexec_b64 s[4:5], vcc
	s_xor_b64 s[4:5], exec, s[4:5]
	s_cbranch_execz .LBB45_50
; %bb.49:
	v_add_u32_e32 v5, s13, v12
	v_sub_u32_e32 v5, v5, v10
	v_add_u32_e32 v4, v5, v4
	v_mov_b32_e32 v5, 0
	v_lshlrev_b64 v[6:7], 1, v[4:5]
	v_mov_b32_e32 v8, s21
	v_add_co_u32_e32 v6, vcc, s20, v6
	v_addc_co_u32_e32 v7, vcc, v8, v7, vcc
	global_store_short v[6:7], v3, off
	v_add_u32_e32 v6, 1, v4
	v_mov_b32_e32 v7, v5
	v_lshlrev_b64 v[6:7], 1, v[6:7]
	v_mov_b32_e32 v3, s21
	v_add_co_u32_e32 v6, vcc, s20, v6
	v_addc_co_u32_e32 v7, vcc, v3, v7, vcc
	global_store_short v[6:7], v2, off
	v_add_u32_e32 v2, 2, v4
	v_mov_b32_e32 v3, v5
	v_lshlrev_b64 v[2:3], 1, v[2:3]
	v_mov_b32_e32 v6, s21
	v_add_co_u32_e32 v2, vcc, s20, v2
	v_addc_co_u32_e32 v3, vcc, v6, v3, vcc
	v_add_u32_e32 v4, 3, v4
	global_store_short v[2:3], v1, off
	v_lshlrev_b64 v[1:2], 1, v[4:5]
	v_mov_b32_e32 v3, s21
	v_add_co_u32_e32 v1, vcc, s20, v1
	v_addc_co_u32_e32 v2, vcc, v3, v2, vcc
	global_store_short v[1:2], v0, off
                                        ; implicit-def: $vgpr10
                                        ; implicit-def: $vgpr0
                                        ; implicit-def: $vgpr1
                                        ; implicit-def: $vgpr2
                                        ; implicit-def: $vgpr3
                                        ; implicit-def: $vgpr9
                                        ; implicit-def: $vgpr4
.LBB45_50:
	s_andn2_saveexec_b64 s[4:5], s[4:5]
	s_cbranch_execz .LBB45_54
; %bb.51:
	v_cmp_gt_u32_e32 vcc, 4, v10
	s_and_b64 exec, exec, vcc
	s_cbranch_execz .LBB45_54
; %bb.52:
	s_mov_b32 s4, 0x5040100
	v_perm_b32 v1, v0, v1, s4
	v_perm_b32 v0, v2, v3, s4
	v_lshl_or_b32 v2, s28, 6, v9
	s_lshl_b32 s4, s30, 6
	v_subrev_u32_e32 v3, s4, v2
	v_add_u32_e32 v5, 4, v3
	v_min_u32_e32 v7, s12, v5
	v_sub_u32_e32 v3, v3, v7
	v_add_u32_e32 v6, 3, v3
	v_add3_u32 v2, s13, v4, v2
	v_mov_b32_e32 v3, 0
	v_subrev_u32_e32 v8, s4, v2
	v_sub_u32_e32 v2, v5, v7
	v_mov_b32_e32 v5, v3
	s_mov_b64 s[6:7], 0
	v_mov_b32_e32 v7, s21
	v_mov_b32_e32 v4, v2
	;; [unrolled: 1-line block ×3, first 2 shown]
.LBB45_53:                              ; =>This Inner Loop Header: Depth=1
	v_lshlrev_b32_e32 v10, 4, v4
	v_lshlrev_b64 v[8:9], 1, v[2:3]
	v_add_co_u32_e32 v4, vcc, 1, v4
	v_add_u32_e32 v6, 1, v6
	v_addc_co_u32_e32 v5, vcc, 0, v5, vcc
	v_lshrrev_b64 v[10:11], v10, v[0:1]
	v_cmp_lt_u32_e32 vcc, 2, v6
	v_add_co_u32_e64 v8, s[4:5], s20, v8
	v_add_u32_e32 v2, 1, v2
	v_addc_co_u32_e64 v9, s[4:5], v7, v9, s[4:5]
	s_or_b64 s[6:7], vcc, s[6:7]
	global_store_short v[8:9], v10, off
	s_andn2_b64 exec, exec, s[6:7]
	s_cbranch_execnz .LBB45_53
.LBB45_54:
	s_endpgm
	.section	.rodata,"a",@progbits
	.p2align	6, 0x0
	.amdhsa_kernel Transform_H_S_010_16_16_VW_4
		.amdhsa_group_segment_fixed_size 0
		.amdhsa_private_segment_fixed_size 64
		.amdhsa_kernarg_size 344
		.amdhsa_user_sgpr_count 8
		.amdhsa_user_sgpr_private_segment_buffer 1
		.amdhsa_user_sgpr_dispatch_ptr 0
		.amdhsa_user_sgpr_queue_ptr 0
		.amdhsa_user_sgpr_kernarg_segment_ptr 1
		.amdhsa_user_sgpr_dispatch_id 0
		.amdhsa_user_sgpr_flat_scratch_init 1
		.amdhsa_user_sgpr_private_segment_size 0
		.amdhsa_uses_dynamic_stack 0
		.amdhsa_system_sgpr_private_segment_wavefront_offset 1
		.amdhsa_system_sgpr_workgroup_id_x 1
		.amdhsa_system_sgpr_workgroup_id_y 0
		.amdhsa_system_sgpr_workgroup_id_z 1
		.amdhsa_system_sgpr_workgroup_info 0
		.amdhsa_system_vgpr_workitem_id 0
		.amdhsa_next_free_vgpr 42
		.amdhsa_next_free_sgpr 34
		.amdhsa_reserve_vcc 1
		.amdhsa_reserve_flat_scratch 1
		.amdhsa_float_round_mode_32 0
		.amdhsa_float_round_mode_16_64 0
		.amdhsa_float_denorm_mode_32 3
		.amdhsa_float_denorm_mode_16_64 3
		.amdhsa_dx10_clamp 1
		.amdhsa_ieee_mode 1
		.amdhsa_fp16_overflow 0
		.amdhsa_exception_fp_ieee_invalid_op 0
		.amdhsa_exception_fp_denorm_src 0
		.amdhsa_exception_fp_ieee_div_zero 0
		.amdhsa_exception_fp_ieee_overflow 0
		.amdhsa_exception_fp_ieee_underflow 0
		.amdhsa_exception_fp_ieee_inexact 0
		.amdhsa_exception_int_div_zero 0
	.end_amdhsa_kernel
	.text
.Lfunc_end45:
	.size	Transform_H_S_010_16_16_VW_4, .Lfunc_end45-Transform_H_S_010_16_16_VW_4
                                        ; -- End function
	.set Transform_H_S_010_16_16_VW_4.num_vgpr, max(42, .L__assert_fail.num_vgpr)
	.set Transform_H_S_010_16_16_VW_4.num_agpr, max(0, .L__assert_fail.num_agpr)
	.set Transform_H_S_010_16_16_VW_4.numbered_sgpr, max(33, .L__assert_fail.numbered_sgpr)
	.set Transform_H_S_010_16_16_VW_4.num_named_barrier, max(0, .L__assert_fail.num_named_barrier)
	.set Transform_H_S_010_16_16_VW_4.private_seg_size, 0+max(.L__assert_fail.private_seg_size)
	.set Transform_H_S_010_16_16_VW_4.uses_vcc, or(1, .L__assert_fail.uses_vcc)
	.set Transform_H_S_010_16_16_VW_4.uses_flat_scratch, or(1, .L__assert_fail.uses_flat_scratch)
	.set Transform_H_S_010_16_16_VW_4.has_dyn_sized_stack, or(0, .L__assert_fail.has_dyn_sized_stack)
	.set Transform_H_S_010_16_16_VW_4.has_recursion, or(0, .L__assert_fail.has_recursion)
	.set Transform_H_S_010_16_16_VW_4.has_indirect_call, or(0, .L__assert_fail.has_indirect_call)
	.section	.AMDGPU.csdata,"",@progbits
; Kernel info:
; codeLenInByte = 1680
; TotalNumSgprs: 40
; NumVgprs: 42
; ScratchSize: 64
; MemoryBound: 0
; FloatMode: 240
; IeeeMode: 1
; LDSByteSize: 0 bytes/workgroup (compile time only)
; SGPRBlocks: 4
; VGPRBlocks: 10
; NumSGPRsForWavesPerEU: 40
; NumVGPRsForWavesPerEU: 42
; Occupancy: 5
; WaveLimiterHint : 1
; COMPUTE_PGM_RSRC2:SCRATCH_EN: 1
; COMPUTE_PGM_RSRC2:USER_SGPR: 8
; COMPUTE_PGM_RSRC2:TRAP_HANDLER: 0
; COMPUTE_PGM_RSRC2:TGID_X_EN: 1
; COMPUTE_PGM_RSRC2:TGID_Y_EN: 0
; COMPUTE_PGM_RSRC2:TGID_Z_EN: 1
; COMPUTE_PGM_RSRC2:TIDIG_COMP_CNT: 0
	.text
	.protected	Transform_H_S_001_16_16_VW_1 ; -- Begin function Transform_H_S_001_16_16_VW_1
	.globl	Transform_H_S_001_16_16_VW_1
	.p2align	8
	.type	Transform_H_S_001_16_16_VW_1,@function
Transform_H_S_001_16_16_VW_1:           ; @Transform_H_S_001_16_16_VW_1
; %bb.0:
	s_mov_b64 s[26:27], s[4:5]
	s_load_dword s4, s[4:5], 0x64
	s_add_u32 flat_scratch_lo, s6, s10
	s_addc_u32 flat_scratch_hi, s7, 0
	s_add_u32 s0, s0, s10
	s_addc_u32 s1, s1, 0
	s_waitcnt lgkmcnt(0)
	s_and_b32 s4, s4, 0xffff
	s_mov_b32 s28, s9
	s_mov_b32 s29, s8
	v_mov_b32_e32 v41, v0
	s_cmpk_eq_i32 s4, 0x100
	s_mov_b64 s[4:5], -1
	s_mov_b32 s32, 0
	s_cbranch_scc1 .LBB46_2
; %bb.1:
	s_add_u32 s8, s26, 0x58
	s_addc_u32 s9, s27, 0
	s_getpc_b64 s[4:5]
	s_add_u32 s4, s4, __PRETTY_FUNCTION__._ZN10amd_detail9transformIDF16_fLb0ELb0ELb1ELj16ELj16ELj1EEEvPT_PKS1_S4_T0_PKS5_S5_S7_jjjjjjbb@rel32@lo+4
	s_addc_u32 s5, s5, __PRETTY_FUNCTION__._ZN10amd_detail9transformIDF16_fLb0ELb0ELb1ELj16ELj16ELj1EEEvPT_PKS1_S4_T0_PKS5_S5_S7_jjjjjjbb@rel32@hi+12
	s_getpc_b64 s[6:7]
	s_add_u32 s6, s6, __assert_fail@rel32@lo+4
	s_addc_u32 s7, s7, __assert_fail@rel32@hi+12
	v_mov_b32_e32 v0, s4
	v_mov_b32_e32 v1, s5
	s_swappc_b64 s[30:31], s[6:7]
	s_mov_b64 s[4:5], 0
	; divergent unreachable
.LBB46_2:
	s_andn2_b64 vcc, exec, s[4:5]
	s_cbranch_vccnz .LBB46_13
; %bb.3:
	s_load_dwordx8 s[4:11], s[26:27], 0x38
	s_waitcnt lgkmcnt(0)
	s_lshr_b32 s11, s4, 4
	s_and_b32 s12, s4, 15
	s_cmp_lg_u32 s12, 0
	s_cselect_b64 s[12:13], -1, 0
	s_cmp_lg_u64 s[12:13], 0
	s_addc_u32 s11, s11, 0
	v_cvt_f32_u32_e32 v0, s11
	s_load_dword s15, s[26:27], 0x18
	s_load_dwordx2 s[12:13], s[26:27], 0x20
	s_sub_i32 s14, 0, s11
	v_rcp_iflag_f32_e32 v0, v0
	v_mul_f32_e32 v0, 0x4f7ffffe, v0
	v_cvt_u32_f32_e32 v0, v0
	v_readfirstlane_b32 s16, v0
	s_mul_i32 s14, s14, s16
	s_mul_hi_u32 s14, s16, s14
	s_add_i32 s16, s16, s14
	s_mul_hi_u32 s14, s29, s16
	s_waitcnt lgkmcnt(0)
	s_cmp_eq_u64 s[12:13], 0
	v_mov_b32_e32 v0, s15
	s_cbranch_scc1 .LBB46_5
; %bb.4:
	v_mov_b32_e32 v0, 0
	global_load_dword v0, v0, s[12:13]
.LBB46_5:
	s_load_dwordx2 s[12:13], s[26:27], 0x30
	s_load_dword s15, s[26:27], 0x28
	s_waitcnt lgkmcnt(0)
	s_cmp_eq_u64 s[12:13], 0
	v_mov_b32_e32 v1, s15
	s_cbranch_scc1 .LBB46_7
; %bb.6:
	v_mov_b32_e32 v1, 0
	global_load_dword v1, v1, s[12:13]
.LBB46_7:
	s_mul_i32 s12, s14, s11
	s_sub_i32 s12, s29, s12
	s_add_i32 s13, s14, 1
	s_sub_i32 s15, s12, s11
	s_cmp_ge_u32 s12, s11
	s_cselect_b32 s13, s13, s14
	s_cselect_b32 s12, s15, s12
	s_add_i32 s14, s13, 1
	s_cmp_ge_u32 s12, s11
	s_cselect_b32 s12, s14, s13
	s_mul_i32 s11, s12, s11
	s_sub_i32 s11, s29, s11
	v_and_b32_e32 v2, 15, v41
	v_lshrrev_b32_e32 v4, 4, v41
	v_lshl_or_b32 v3, s11, 4, v2
	v_lshl_add_u32 v2, s12, 4, v4
	v_cmp_gt_u32_e32 vcc, s4, v3
	v_cmp_gt_u32_e64 s[4:5], s5, v2
	s_and_b64 s[4:5], vcc, s[4:5]
	s_and_saveexec_b64 s[12:13], s[4:5]
	s_cbranch_execz .LBB46_13
; %bb.8:
	s_load_dwordx4 s[12:15], s[26:27], 0x0
	s_load_dwordx2 s[4:5], s[26:27], 0x10
	s_mul_i32 s9, s9, s28
	v_mov_b32_e32 v5, 0
	v_mov_b32_e32 v4, 0
	s_waitcnt lgkmcnt(0)
	s_cmp_eq_u64 s[14:15], 0
	s_cbranch_scc1 .LBB46_10
; %bb.9:
	s_bitcmp1_b32 s10, 0
	s_cselect_b64 vcc, -1, 0
	v_cndmask_b32_e32 v4, v2, v3, vcc
	v_mul_lo_u32 v4, v4, s6
	v_cndmask_b32_e32 v6, v3, v2, vcc
	v_mov_b32_e32 v7, 0
	v_add3_u32 v6, v6, s9, v4
	v_lshlrev_b64 v[6:7], 1, v[6:7]
	v_mov_b32_e32 v4, s15
	v_add_co_u32_e32 v6, vcc, s14, v6
	v_addc_co_u32_e32 v7, vcc, v4, v7, vcc
	global_load_ushort v4, v[6:7], off
	s_waitcnt vmcnt(0)
	v_cvt_f32_f16_e32 v4, v4
.LBB46_10:
	s_cmp_eq_u64 s[4:5], 0
	s_cbranch_scc1 .LBB46_12
; %bb.11:
	s_load_dword s6, s[26:27], 0x50
	v_mov_b32_e32 v6, 0
	v_mov_b32_e32 v7, s5
	s_waitcnt lgkmcnt(0)
	s_bitcmp1_b32 s6, 8
	s_cselect_b64 vcc, -1, 0
	v_cndmask_b32_e32 v5, v2, v3, vcc
	v_mul_lo_u32 v5, v5, s7
	v_cndmask_b32_e32 v8, v3, v2, vcc
	v_add3_u32 v5, v8, s9, v5
	v_lshlrev_b64 v[5:6], 1, v[5:6]
	v_add_co_u32_e32 v5, vcc, s4, v5
	v_addc_co_u32_e32 v6, vcc, v7, v6, vcc
	global_load_ushort v5, v[5:6], off
	s_waitcnt vmcnt(0)
	v_cvt_f32_f16_e32 v5, v5
.LBB46_12:
	v_mul_lo_u32 v3, v3, s8
	s_waitcnt vmcnt(0)
	v_mul_f32_e32 v5, v1, v5
	v_mov_b32_e32 v1, 0
	v_fma_mixlo_f16 v4, v0, v4, v5
	v_add3_u32 v0, v2, s9, v3
	v_lshlrev_b64 v[0:1], 1, v[0:1]
	v_mov_b32_e32 v2, s13
	v_add_co_u32_e32 v0, vcc, s12, v0
	v_addc_co_u32_e32 v1, vcc, v2, v1, vcc
	global_store_short v[0:1], v4, off
.LBB46_13:
	s_endpgm
	.section	.rodata,"a",@progbits
	.p2align	6, 0x0
	.amdhsa_kernel Transform_H_S_001_16_16_VW_1
		.amdhsa_group_segment_fixed_size 0
		.amdhsa_private_segment_fixed_size 64
		.amdhsa_kernarg_size 344
		.amdhsa_user_sgpr_count 8
		.amdhsa_user_sgpr_private_segment_buffer 1
		.amdhsa_user_sgpr_dispatch_ptr 0
		.amdhsa_user_sgpr_queue_ptr 0
		.amdhsa_user_sgpr_kernarg_segment_ptr 1
		.amdhsa_user_sgpr_dispatch_id 0
		.amdhsa_user_sgpr_flat_scratch_init 1
		.amdhsa_user_sgpr_private_segment_size 0
		.amdhsa_uses_dynamic_stack 0
		.amdhsa_system_sgpr_private_segment_wavefront_offset 1
		.amdhsa_system_sgpr_workgroup_id_x 1
		.amdhsa_system_sgpr_workgroup_id_y 0
		.amdhsa_system_sgpr_workgroup_id_z 1
		.amdhsa_system_sgpr_workgroup_info 0
		.amdhsa_system_vgpr_workitem_id 0
		.amdhsa_next_free_vgpr 42
		.amdhsa_next_free_sgpr 34
		.amdhsa_reserve_vcc 1
		.amdhsa_reserve_flat_scratch 1
		.amdhsa_float_round_mode_32 0
		.amdhsa_float_round_mode_16_64 0
		.amdhsa_float_denorm_mode_32 3
		.amdhsa_float_denorm_mode_16_64 3
		.amdhsa_dx10_clamp 1
		.amdhsa_ieee_mode 1
		.amdhsa_fp16_overflow 0
		.amdhsa_exception_fp_ieee_invalid_op 0
		.amdhsa_exception_fp_denorm_src 0
		.amdhsa_exception_fp_ieee_div_zero 0
		.amdhsa_exception_fp_ieee_overflow 0
		.amdhsa_exception_fp_ieee_underflow 0
		.amdhsa_exception_fp_ieee_inexact 0
		.amdhsa_exception_int_div_zero 0
	.end_amdhsa_kernel
	.text
.Lfunc_end46:
	.size	Transform_H_S_001_16_16_VW_1, .Lfunc_end46-Transform_H_S_001_16_16_VW_1
                                        ; -- End function
	.set Transform_H_S_001_16_16_VW_1.num_vgpr, max(42, .L__assert_fail.num_vgpr)
	.set Transform_H_S_001_16_16_VW_1.num_agpr, max(0, .L__assert_fail.num_agpr)
	.set Transform_H_S_001_16_16_VW_1.numbered_sgpr, max(33, .L__assert_fail.numbered_sgpr)
	.set Transform_H_S_001_16_16_VW_1.num_named_barrier, max(0, .L__assert_fail.num_named_barrier)
	.set Transform_H_S_001_16_16_VW_1.private_seg_size, 0+max(.L__assert_fail.private_seg_size)
	.set Transform_H_S_001_16_16_VW_1.uses_vcc, or(1, .L__assert_fail.uses_vcc)
	.set Transform_H_S_001_16_16_VW_1.uses_flat_scratch, or(1, .L__assert_fail.uses_flat_scratch)
	.set Transform_H_S_001_16_16_VW_1.has_dyn_sized_stack, or(0, .L__assert_fail.has_dyn_sized_stack)
	.set Transform_H_S_001_16_16_VW_1.has_recursion, or(0, .L__assert_fail.has_recursion)
	.set Transform_H_S_001_16_16_VW_1.has_indirect_call, or(0, .L__assert_fail.has_indirect_call)
	.section	.AMDGPU.csdata,"",@progbits
; Kernel info:
; codeLenInByte = 680
; TotalNumSgprs: 40
; NumVgprs: 42
; ScratchSize: 64
; MemoryBound: 0
; FloatMode: 240
; IeeeMode: 1
; LDSByteSize: 0 bytes/workgroup (compile time only)
; SGPRBlocks: 4
; VGPRBlocks: 10
; NumSGPRsForWavesPerEU: 40
; NumVGPRsForWavesPerEU: 42
; Occupancy: 5
; WaveLimiterHint : 1
; COMPUTE_PGM_RSRC2:SCRATCH_EN: 1
; COMPUTE_PGM_RSRC2:USER_SGPR: 8
; COMPUTE_PGM_RSRC2:TRAP_HANDLER: 0
; COMPUTE_PGM_RSRC2:TGID_X_EN: 1
; COMPUTE_PGM_RSRC2:TGID_Y_EN: 0
; COMPUTE_PGM_RSRC2:TGID_Z_EN: 1
; COMPUTE_PGM_RSRC2:TIDIG_COMP_CNT: 0
	.text
	.protected	Transform_H_S_001_16_16_VW_4 ; -- Begin function Transform_H_S_001_16_16_VW_4
	.globl	Transform_H_S_001_16_16_VW_4
	.p2align	8
	.type	Transform_H_S_001_16_16_VW_4,@function
Transform_H_S_001_16_16_VW_4:           ; @Transform_H_S_001_16_16_VW_4
; %bb.0:
	s_mov_b64 s[26:27], s[4:5]
	s_load_dword s4, s[4:5], 0x64
	s_add_u32 flat_scratch_lo, s6, s10
	s_addc_u32 flat_scratch_hi, s7, 0
	s_add_u32 s0, s0, s10
	s_addc_u32 s1, s1, 0
	s_waitcnt lgkmcnt(0)
	s_and_b32 s4, s4, 0xffff
	s_mov_b32 s29, s9
	s_mov_b32 s28, s8
	v_mov_b32_e32 v41, v0
	s_cmpk_eq_i32 s4, 0x100
	s_mov_b64 s[4:5], -1
	s_mov_b32 s32, 0
	s_cbranch_scc1 .LBB47_2
; %bb.1:
	s_add_u32 s8, s26, 0x58
	s_addc_u32 s9, s27, 0
	s_getpc_b64 s[4:5]
	s_add_u32 s4, s4, __PRETTY_FUNCTION__._ZN10amd_detail9transformIDF16_fLb0ELb0ELb1ELj16ELj16ELj4EEEvPT_PKS1_S4_T0_PKS5_S5_S7_jjjjjjbb@rel32@lo+4
	s_addc_u32 s5, s5, __PRETTY_FUNCTION__._ZN10amd_detail9transformIDF16_fLb0ELb0ELb1ELj16ELj16ELj4EEEvPT_PKS1_S4_T0_PKS5_S5_S7_jjjjjjbb@rel32@hi+12
	s_getpc_b64 s[6:7]
	s_add_u32 s6, s6, __assert_fail@rel32@lo+4
	s_addc_u32 s7, s7, __assert_fail@rel32@hi+12
	v_mov_b32_e32 v0, s4
	v_mov_b32_e32 v1, s5
	s_swappc_b64 s[30:31], s[6:7]
	s_mov_b64 s[4:5], 0
	; divergent unreachable
.LBB47_2:
	s_andn2_b64 vcc, exec, s[4:5]
	s_cbranch_vccnz .LBB47_54
; %bb.3:
	s_load_dwordx4 s[12:15], s[26:27], 0x38
	s_waitcnt lgkmcnt(0)
	s_lshr_b32 s6, s12, 4
	s_and_b32 s4, s12, 15
	s_cmp_lg_u32 s4, 0
	s_cselect_b64 s[4:5], -1, 0
	s_cmp_lg_u64 s[4:5], 0
	s_addc_u32 s6, s6, 0
	v_cvt_f32_u32_e32 v0, s6
	s_load_dword s8, s[26:27], 0x18
	s_load_dwordx2 s[4:5], s[26:27], 0x20
	s_sub_i32 s7, 0, s6
	v_rcp_iflag_f32_e32 v0, v0
	s_waitcnt lgkmcnt(0)
	v_mov_b32_e32 v13, s8
	v_mul_f32_e32 v0, 0x4f7ffffe, v0
	v_cvt_u32_f32_e32 v0, v0
	v_readfirstlane_b32 s9, v0
	s_mul_i32 s7, s7, s9
	s_mul_hi_u32 s7, s9, s7
	s_add_i32 s9, s9, s7
	s_mul_hi_u32 s7, s28, s9
	s_cmp_eq_u64 s[4:5], 0
	s_cbranch_scc1 .LBB47_5
; %bb.4:
	v_mov_b32_e32 v0, 0
	global_load_dword v13, v0, s[4:5]
.LBB47_5:
	s_load_dwordx2 s[4:5], s[26:27], 0x30
	s_load_dword s8, s[26:27], 0x28
	s_waitcnt lgkmcnt(0)
	s_cmp_eq_u64 s[4:5], 0
	v_mov_b32_e32 v14, s8
	s_cbranch_scc1 .LBB47_7
; %bb.6:
	v_mov_b32_e32 v0, 0
	global_load_dword v14, v0, s[4:5]
.LBB47_7:
	s_mul_i32 s4, s7, s6
	s_sub_i32 s4, s28, s4
	s_add_i32 s5, s7, 1
	s_sub_i32 s8, s4, s6
	s_cmp_ge_u32 s4, s6
	s_cselect_b32 s5, s5, s7
	s_cselect_b32 s4, s8, s4
	s_add_i32 s7, s5, 1
	s_cmp_ge_u32 s4, s6
	s_cselect_b32 s4, s7, s5
	s_mul_i32 s30, s4, s6
	s_sub_i32 s5, s28, s30
	v_and_b32_e32 v9, 15, v41
	v_lshl_or_b32 v1, s5, 4, v9
	v_cmp_gt_u32_e32 vcc, s12, v1
	s_and_saveexec_b64 s[6:7], vcc
	s_cbranch_execz .LBB47_54
; %bb.8:
	v_lshrrev_b32_e32 v0, 2, v41
	s_lshl_b32 s12, s4, 6
	v_and_b32_e32 v11, 0xfc, v0
	s_load_dwordx4 s[20:23], s[26:27], 0x48
	v_add_u32_e32 v10, s12, v11
	v_add_u32_e32 v12, 4, v10
	v_sub_u32_e64 v0, v12, s13 clamp
	s_load_dwordx4 s[16:19], s[26:27], 0x0
	s_load_dwordx2 s[24:25], s[26:27], 0x10
	v_sub_u32_e32 v5, v10, v0
	v_mad_u64_u32 v[2:3], s[4:5], v1, s14, v[5:6]
	s_waitcnt lgkmcnt(0)
	s_bitcmp1_b32 s22, 0
	s_cselect_b64 vcc, -1, 0
	s_cmp_lg_u64 s[18:19], 0
	s_mul_i32 s21, s21, s29
	s_cselect_b64 s[10:11], -1, 0
	s_cmp_eq_u64 s[18:19], 0
	v_mov_b32_e32 v16, 0
	v_mov_b32_e32 v15, 0
	s_cbranch_scc1 .LBB47_10
; %bb.9:
	v_mad_u64_u32 v[3:4], s[4:5], v5, s14, v[1:2]
	v_mov_b32_e32 v4, 0
	v_mov_b32_e32 v6, s19
	v_cndmask_b32_e32 v3, v3, v2, vcc
	v_add_u32_e32 v3, s21, v3
	v_lshlrev_b64 v[3:4], 1, v[3:4]
	v_add_co_u32_e64 v3, s[4:5], s18, v3
	v_addc_co_u32_e64 v4, s[4:5], v6, v4, s[4:5]
	global_load_ushort v3, v[3:4], off
	s_waitcnt vmcnt(0)
	v_cvt_f32_f16_e32 v15, v3
.LBB47_10:
	s_load_dword s6, s[26:27], 0x50
	s_xor_b64 s[8:9], vcc, -1
	v_mad_u64_u32 v[3:4], s[4:5], v1, s15, v[5:6]
	s_waitcnt lgkmcnt(0)
	s_bitcmp1_b32 s6, 8
	s_cselect_b64 s[6:7], -1, 0
	s_cmp_lg_u64 s[24:25], 0
	s_cselect_b64 s[22:23], -1, 0
	s_cmp_eq_u64 s[24:25], 0
	s_cbranch_scc1 .LBB47_12
; %bb.11:
	v_mad_u64_u32 v[6:7], s[4:5], v5, s15, v[1:2]
	v_mov_b32_e32 v7, 0
	v_mov_b32_e32 v4, s25
	v_cndmask_b32_e64 v6, v6, v3, s[6:7]
	v_add_u32_e32 v6, s21, v6
	v_lshlrev_b64 v[6:7], 1, v[6:7]
	v_add_co_u32_e32 v6, vcc, s24, v6
	v_addc_co_u32_e32 v7, vcc, v4, v7, vcc
	global_load_ushort v4, v[6:7], off
	s_waitcnt vmcnt(0)
	v_cvt_f32_f16_e32 v16, v4
.LBB47_12:
	v_cndmask_b32_e64 v4, 0, 1, s[8:9]
	v_cmp_ne_u32_e64 s[4:5], 1, v4
	s_andn2_b64 vcc, exec, s[8:9]
	s_cbranch_vccnz .LBB47_14
; %bb.13:
	v_mul_lo_u32 v4, s14, v5
	v_add3_u32 v4, v4, s14, v1
	s_xor_b64 s[8:9], s[6:7], -1
	s_cbranch_execz .LBB47_15
	s_branch .LBB47_16
.LBB47_14:
                                        ; implicit-def: $vgpr4
	s_xor_b64 s[8:9], s[6:7], -1
.LBB47_15:
	v_add_u32_e32 v4, 1, v2
.LBB47_16:
	v_cndmask_b32_e64 v6, 0, 1, s[8:9]
	v_cmp_ne_u32_e64 s[6:7], 1, v6
	s_andn2_b64 vcc, exec, s[8:9]
	s_cbranch_vccnz .LBB47_18
; %bb.17:
	v_mul_lo_u32 v6, s15, v5
	v_add3_u32 v6, v6, s15, v1
	s_cbranch_execz .LBB47_19
	s_branch .LBB47_20
.LBB47_18:
                                        ; implicit-def: $vgpr6
.LBB47_19:
	v_add_u32_e32 v6, 1, v3
.LBB47_20:
	v_cndmask_b32_e64 v7, 0, 1, s[10:11]
	v_mov_b32_e32 v17, 0
	v_cmp_ne_u32_e64 s[8:9], 1, v7
	s_andn2_b64 vcc, exec, s[10:11]
	v_mov_b32_e32 v18, 0
	s_cbranch_vccnz .LBB47_22
; %bb.21:
	v_add_u32_e32 v7, s21, v4
	v_mov_b32_e32 v8, 0
	v_lshlrev_b64 v[7:8], 1, v[7:8]
	v_mov_b32_e32 v4, s19
	v_add_co_u32_e32 v7, vcc, s18, v7
	v_addc_co_u32_e32 v8, vcc, v4, v8, vcc
	global_load_ushort v4, v[7:8], off
	s_waitcnt vmcnt(0)
	v_cvt_f32_f16_e32 v18, v4
.LBB47_22:
	v_cndmask_b32_e64 v4, 0, 1, s[22:23]
	v_cmp_ne_u32_e64 s[10:11], 1, v4
	s_andn2_b64 vcc, exec, s[22:23]
	s_cbranch_vccnz .LBB47_24
; %bb.23:
	v_add_u32_e32 v6, s21, v6
	v_mov_b32_e32 v7, 0
	v_lshlrev_b64 v[6:7], 1, v[6:7]
	v_mov_b32_e32 v4, s25
	v_add_co_u32_e32 v6, vcc, s24, v6
	v_addc_co_u32_e32 v7, vcc, v4, v7, vcc
	global_load_ushort v4, v[6:7], off
	s_waitcnt vmcnt(0)
	v_cvt_f32_f16_e32 v17, v4
.LBB47_24:
	s_and_b64 vcc, exec, s[4:5]
	v_add_u32_e32 v4, 2, v5
	s_cbranch_vccnz .LBB47_26
; %bb.25:
	v_mad_u64_u32 v[6:7], s[22:23], v4, s14, v[1:2]
	s_cbranch_execz .LBB47_27
	s_branch .LBB47_28
.LBB47_26:
                                        ; implicit-def: $vgpr6
.LBB47_27:
	v_add_u32_e32 v6, 2, v2
.LBB47_28:
	s_and_b64 vcc, exec, s[6:7]
	s_cbranch_vccnz .LBB47_30
; %bb.29:
	v_mad_u64_u32 v[7:8], s[22:23], v4, s15, v[1:2]
	s_cbranch_execz .LBB47_31
	s_branch .LBB47_32
.LBB47_30:
                                        ; implicit-def: $vgpr7
.LBB47_31:
	v_add_u32_e32 v7, 2, v3
.LBB47_32:
	v_mov_b32_e32 v8, 0
	s_and_b64 vcc, exec, s[8:9]
	v_mov_b32_e32 v19, 0
	s_cbranch_vccnz .LBB47_34
; %bb.33:
	v_add_u32_e32 v19, s21, v6
	v_mov_b32_e32 v20, 0
	v_lshlrev_b64 v[19:20], 1, v[19:20]
	v_mov_b32_e32 v4, s19
	v_add_co_u32_e32 v19, vcc, s18, v19
	v_addc_co_u32_e32 v20, vcc, v4, v20, vcc
	global_load_ushort v4, v[19:20], off
	s_waitcnt vmcnt(0)
	v_cvt_f32_f16_e32 v19, v4
.LBB47_34:
	s_and_b64 vcc, exec, s[10:11]
	s_cbranch_vccnz .LBB47_36
; %bb.35:
	v_add_u32_e32 v6, s21, v7
	v_mov_b32_e32 v7, 0
	v_lshlrev_b64 v[6:7], 1, v[6:7]
	v_mov_b32_e32 v4, s25
	v_add_co_u32_e32 v6, vcc, s24, v6
	v_addc_co_u32_e32 v7, vcc, v4, v7, vcc
	global_load_ushort v4, v[6:7], off
	s_waitcnt vmcnt(0)
	v_cvt_f32_f16_e32 v8, v4
.LBB47_36:
	s_and_b64 vcc, exec, s[4:5]
	v_add_u32_e32 v6, 3, v5
	s_cbranch_vccnz .LBB47_38
; %bb.37:
	v_mad_u64_u32 v[4:5], s[4:5], v6, s14, v[1:2]
	s_cbranch_execz .LBB47_39
	s_branch .LBB47_40
.LBB47_38:
                                        ; implicit-def: $vgpr4
.LBB47_39:
	v_add_u32_e32 v4, 3, v2
.LBB47_40:
	s_and_b64 vcc, exec, s[6:7]
	s_cbranch_vccnz .LBB47_42
; %bb.41:
	v_mad_u64_u32 v[5:6], s[4:5], v6, s15, v[1:2]
	s_cbranch_execz .LBB47_43
	s_branch .LBB47_44
.LBB47_42:
                                        ; implicit-def: $vgpr5
.LBB47_43:
	v_add_u32_e32 v5, 3, v3
.LBB47_44:
	v_mov_b32_e32 v2, 0
	s_and_b64 vcc, exec, s[8:9]
	v_mov_b32_e32 v6, 0
	s_cbranch_vccnz .LBB47_46
; %bb.45:
	v_add_u32_e32 v3, s21, v4
	v_mov_b32_e32 v4, 0
	v_lshlrev_b64 v[3:4], 1, v[3:4]
	v_mov_b32_e32 v6, s19
	v_add_co_u32_e32 v3, vcc, s18, v3
	v_addc_co_u32_e32 v4, vcc, v6, v4, vcc
	global_load_ushort v3, v[3:4], off
	s_waitcnt vmcnt(0)
	v_cvt_f32_f16_e32 v6, v3
.LBB47_46:
	s_and_b64 vcc, exec, s[10:11]
	s_cbranch_vccnz .LBB47_48
; %bb.47:
	v_add_u32_e32 v2, s21, v5
	v_mov_b32_e32 v3, 0
	v_lshlrev_b64 v[2:3], 1, v[2:3]
	v_mov_b32_e32 v4, s25
	v_add_co_u32_e32 v2, vcc, s24, v2
	v_addc_co_u32_e32 v3, vcc, v4, v3, vcc
	global_load_ushort v2, v[2:3], off
	s_waitcnt vmcnt(0)
	v_cvt_f32_f16_e32 v2, v2
.LBB47_48:
	s_waitcnt vmcnt(0)
	v_mul_f32_e32 v3, v14, v16
	v_fma_mixlo_f16 v5, v13, v15, v3
	v_mul_f32_e32 v3, v14, v17
	v_fma_mixlo_f16 v4, v13, v18, v3
	v_mul_f32_e32 v3, v14, v8
	v_mul_f32_e32 v2, v14, v2
	v_fma_mixlo_f16 v3, v13, v19, v3
	v_fma_mixlo_f16 v2, v13, v6, v2
	v_cmp_ge_u32_e32 vcc, s13, v12
	s_and_saveexec_b64 s[4:5], vcc
	s_xor_b64 s[4:5], exec, s[4:5]
	s_cbranch_execz .LBB47_50
; %bb.49:
	v_mul_lo_u32 v6, v1, s20
	v_mov_b32_e32 v1, 0
	v_mov_b32_e32 v8, s17
                                        ; implicit-def: $vgpr9
                                        ; implicit-def: $vgpr11
                                        ; implicit-def: $vgpr12
	v_add3_u32 v6, v10, s21, v6
	v_sub_u32_e32 v0, v6, v0
	v_lshlrev_b64 v[6:7], 1, v[0:1]
                                        ; implicit-def: $vgpr10
	v_add_co_u32_e32 v6, vcc, s16, v6
	v_addc_co_u32_e32 v7, vcc, v8, v7, vcc
	global_store_short v[6:7], v5, off
	v_add_u32_e32 v5, 1, v0
	v_mov_b32_e32 v6, v1
	v_lshlrev_b64 v[5:6], 1, v[5:6]
	v_mov_b32_e32 v7, s17
	v_add_co_u32_e32 v5, vcc, s16, v5
	v_addc_co_u32_e32 v6, vcc, v7, v6, vcc
	global_store_short v[5:6], v4, off
	v_add_u32_e32 v4, 2, v0
	v_mov_b32_e32 v5, v1
	v_lshlrev_b64 v[4:5], 1, v[4:5]
	v_add_u32_e32 v0, 3, v0
	v_mov_b32_e32 v6, s17
	v_add_co_u32_e32 v4, vcc, s16, v4
	v_lshlrev_b64 v[0:1], 1, v[0:1]
	v_addc_co_u32_e32 v5, vcc, v6, v5, vcc
	global_store_short v[4:5], v3, off
	v_mov_b32_e32 v3, s17
	v_add_co_u32_e32 v0, vcc, s16, v0
	v_addc_co_u32_e32 v1, vcc, v3, v1, vcc
	global_store_short v[0:1], v2, off
                                        ; implicit-def: $vgpr0
                                        ; implicit-def: $vgpr5
                                        ; implicit-def: $vgpr4
                                        ; implicit-def: $vgpr3
                                        ; implicit-def: $vgpr2
.LBB47_50:
	s_andn2_saveexec_b64 s[4:5], s[4:5]
	s_cbranch_execz .LBB47_54
; %bb.51:
	v_cmp_gt_u32_e32 vcc, 4, v0
	s_and_b64 exec, exec, vcc
	s_cbranch_execz .LBB47_54
; %bb.52:
	s_mov_b32 s4, 0x5040100
	v_perm_b32 v3, v2, v3, s4
	v_perm_b32 v2, v4, v5, s4
	v_lshl_or_b32 v4, s28, 4, v9
	s_lshl_b32 s4, s30, 4
	v_subrev_u32_e32 v4, s4, v4
	v_mul_lo_u32 v4, s20, v4
	v_min_u32_e32 v1, s13, v12
	v_sub_u32_e32 v1, v10, v1
	v_add_u32_e32 v6, 3, v1
	s_add_i32 s12, s12, s21
	v_mov_b32_e32 v1, 0
	v_add3_u32 v8, s12, v4, v11
	v_mov_b32_e32 v5, v1
	s_mov_b64 s[6:7], 0
	v_mov_b32_e32 v7, s17
	v_mov_b32_e32 v4, v0
	;; [unrolled: 1-line block ×3, first 2 shown]
.LBB47_53:                              ; =>This Inner Loop Header: Depth=1
	v_lshlrev_b32_e32 v10, 4, v4
	v_lshlrev_b64 v[8:9], 1, v[0:1]
	v_add_co_u32_e32 v4, vcc, 1, v4
	v_add_u32_e32 v6, 1, v6
	v_addc_co_u32_e32 v5, vcc, 0, v5, vcc
	v_lshrrev_b64 v[10:11], v10, v[2:3]
	v_cmp_lt_u32_e32 vcc, 2, v6
	v_add_co_u32_e64 v8, s[4:5], s16, v8
	v_add_u32_e32 v0, 1, v0
	v_addc_co_u32_e64 v9, s[4:5], v7, v9, s[4:5]
	s_or_b64 s[6:7], vcc, s[6:7]
	global_store_short v[8:9], v10, off
	s_andn2_b64 exec, exec, s[6:7]
	s_cbranch_execnz .LBB47_53
.LBB47_54:
	s_endpgm
	.section	.rodata,"a",@progbits
	.p2align	6, 0x0
	.amdhsa_kernel Transform_H_S_001_16_16_VW_4
		.amdhsa_group_segment_fixed_size 0
		.amdhsa_private_segment_fixed_size 64
		.amdhsa_kernarg_size 344
		.amdhsa_user_sgpr_count 8
		.amdhsa_user_sgpr_private_segment_buffer 1
		.amdhsa_user_sgpr_dispatch_ptr 0
		.amdhsa_user_sgpr_queue_ptr 0
		.amdhsa_user_sgpr_kernarg_segment_ptr 1
		.amdhsa_user_sgpr_dispatch_id 0
		.amdhsa_user_sgpr_flat_scratch_init 1
		.amdhsa_user_sgpr_private_segment_size 0
		.amdhsa_uses_dynamic_stack 0
		.amdhsa_system_sgpr_private_segment_wavefront_offset 1
		.amdhsa_system_sgpr_workgroup_id_x 1
		.amdhsa_system_sgpr_workgroup_id_y 0
		.amdhsa_system_sgpr_workgroup_id_z 1
		.amdhsa_system_sgpr_workgroup_info 0
		.amdhsa_system_vgpr_workitem_id 0
		.amdhsa_next_free_vgpr 42
		.amdhsa_next_free_sgpr 34
		.amdhsa_reserve_vcc 1
		.amdhsa_reserve_flat_scratch 1
		.amdhsa_float_round_mode_32 0
		.amdhsa_float_round_mode_16_64 0
		.amdhsa_float_denorm_mode_32 3
		.amdhsa_float_denorm_mode_16_64 3
		.amdhsa_dx10_clamp 1
		.amdhsa_ieee_mode 1
		.amdhsa_fp16_overflow 0
		.amdhsa_exception_fp_ieee_invalid_op 0
		.amdhsa_exception_fp_denorm_src 0
		.amdhsa_exception_fp_ieee_div_zero 0
		.amdhsa_exception_fp_ieee_overflow 0
		.amdhsa_exception_fp_ieee_underflow 0
		.amdhsa_exception_fp_ieee_inexact 0
		.amdhsa_exception_int_div_zero 0
	.end_amdhsa_kernel
	.text
.Lfunc_end47:
	.size	Transform_H_S_001_16_16_VW_4, .Lfunc_end47-Transform_H_S_001_16_16_VW_4
                                        ; -- End function
	.set Transform_H_S_001_16_16_VW_4.num_vgpr, max(42, .L__assert_fail.num_vgpr)
	.set Transform_H_S_001_16_16_VW_4.num_agpr, max(0, .L__assert_fail.num_agpr)
	.set Transform_H_S_001_16_16_VW_4.numbered_sgpr, max(33, .L__assert_fail.numbered_sgpr)
	.set Transform_H_S_001_16_16_VW_4.num_named_barrier, max(0, .L__assert_fail.num_named_barrier)
	.set Transform_H_S_001_16_16_VW_4.private_seg_size, 0+max(.L__assert_fail.private_seg_size)
	.set Transform_H_S_001_16_16_VW_4.uses_vcc, or(1, .L__assert_fail.uses_vcc)
	.set Transform_H_S_001_16_16_VW_4.uses_flat_scratch, or(1, .L__assert_fail.uses_flat_scratch)
	.set Transform_H_S_001_16_16_VW_4.has_dyn_sized_stack, or(0, .L__assert_fail.has_dyn_sized_stack)
	.set Transform_H_S_001_16_16_VW_4.has_recursion, or(0, .L__assert_fail.has_recursion)
	.set Transform_H_S_001_16_16_VW_4.has_indirect_call, or(0, .L__assert_fail.has_indirect_call)
	.section	.AMDGPU.csdata,"",@progbits
; Kernel info:
; codeLenInByte = 1684
; TotalNumSgprs: 40
; NumVgprs: 42
; ScratchSize: 64
; MemoryBound: 0
; FloatMode: 240
; IeeeMode: 1
; LDSByteSize: 0 bytes/workgroup (compile time only)
; SGPRBlocks: 4
; VGPRBlocks: 10
; NumSGPRsForWavesPerEU: 40
; NumVGPRsForWavesPerEU: 42
; Occupancy: 5
; WaveLimiterHint : 1
; COMPUTE_PGM_RSRC2:SCRATCH_EN: 1
; COMPUTE_PGM_RSRC2:USER_SGPR: 8
; COMPUTE_PGM_RSRC2:TRAP_HANDLER: 0
; COMPUTE_PGM_RSRC2:TGID_X_EN: 1
; COMPUTE_PGM_RSRC2:TGID_Y_EN: 0
; COMPUTE_PGM_RSRC2:TGID_Z_EN: 1
; COMPUTE_PGM_RSRC2:TIDIG_COMP_CNT: 0
	.text
	.protected	Transform_H_S_000_16_16_VW_1 ; -- Begin function Transform_H_S_000_16_16_VW_1
	.globl	Transform_H_S_000_16_16_VW_1
	.p2align	8
	.type	Transform_H_S_000_16_16_VW_1,@function
Transform_H_S_000_16_16_VW_1:           ; @Transform_H_S_000_16_16_VW_1
; %bb.0:
	s_mov_b64 s[26:27], s[4:5]
	s_load_dword s4, s[4:5], 0x64
	s_add_u32 flat_scratch_lo, s6, s10
	s_addc_u32 flat_scratch_hi, s7, 0
	s_add_u32 s0, s0, s10
	s_addc_u32 s1, s1, 0
	s_waitcnt lgkmcnt(0)
	s_and_b32 s4, s4, 0xffff
	s_mov_b32 s28, s9
	s_mov_b32 s29, s8
	v_mov_b32_e32 v41, v0
	s_cmpk_eq_i32 s4, 0x100
	s_mov_b64 s[4:5], -1
	s_mov_b32 s32, 0
	s_cbranch_scc1 .LBB48_2
; %bb.1:
	s_add_u32 s8, s26, 0x58
	s_addc_u32 s9, s27, 0
	s_getpc_b64 s[4:5]
	s_add_u32 s4, s4, __PRETTY_FUNCTION__._ZN10amd_detail9transformIDF16_fLb0ELb0ELb0ELj16ELj16ELj1EEEvPT_PKS1_S4_T0_PKS5_S5_S7_jjjjjjbb@rel32@lo+4
	s_addc_u32 s5, s5, __PRETTY_FUNCTION__._ZN10amd_detail9transformIDF16_fLb0ELb0ELb0ELj16ELj16ELj1EEEvPT_PKS1_S4_T0_PKS5_S5_S7_jjjjjjbb@rel32@hi+12
	s_getpc_b64 s[6:7]
	s_add_u32 s6, s6, __assert_fail@rel32@lo+4
	s_addc_u32 s7, s7, __assert_fail@rel32@hi+12
	v_mov_b32_e32 v0, s4
	v_mov_b32_e32 v1, s5
	s_swappc_b64 s[30:31], s[6:7]
	s_mov_b64 s[4:5], 0
	; divergent unreachable
.LBB48_2:
	s_andn2_b64 vcc, exec, s[4:5]
	s_cbranch_vccnz .LBB48_13
; %bb.3:
	s_load_dwordx8 s[4:11], s[26:27], 0x38
	s_waitcnt lgkmcnt(0)
	s_lshr_b32 s11, s4, 4
	s_and_b32 s12, s4, 15
	s_cmp_lg_u32 s12, 0
	s_cselect_b64 s[12:13], -1, 0
	s_cmp_lg_u64 s[12:13], 0
	s_addc_u32 s11, s11, 0
	v_cvt_f32_u32_e32 v0, s11
	s_load_dword s15, s[26:27], 0x18
	s_load_dwordx2 s[12:13], s[26:27], 0x20
	s_sub_i32 s14, 0, s11
	v_rcp_iflag_f32_e32 v0, v0
	v_mul_f32_e32 v0, 0x4f7ffffe, v0
	v_cvt_u32_f32_e32 v0, v0
	v_readfirstlane_b32 s16, v0
	s_mul_i32 s14, s14, s16
	s_mul_hi_u32 s14, s16, s14
	s_add_i32 s16, s16, s14
	s_mul_hi_u32 s14, s29, s16
	s_waitcnt lgkmcnt(0)
	s_cmp_eq_u64 s[12:13], 0
	v_mov_b32_e32 v0, s15
	s_cbranch_scc1 .LBB48_5
; %bb.4:
	v_mov_b32_e32 v0, 0
	global_load_dword v0, v0, s[12:13]
.LBB48_5:
	s_load_dwordx2 s[12:13], s[26:27], 0x30
	s_load_dword s15, s[26:27], 0x28
	s_waitcnt lgkmcnt(0)
	s_cmp_eq_u64 s[12:13], 0
	v_mov_b32_e32 v1, s15
	s_cbranch_scc1 .LBB48_7
; %bb.6:
	v_mov_b32_e32 v1, 0
	global_load_dword v1, v1, s[12:13]
.LBB48_7:
	s_mul_i32 s12, s14, s11
	s_sub_i32 s12, s29, s12
	s_add_i32 s13, s14, 1
	s_sub_i32 s15, s12, s11
	s_cmp_ge_u32 s12, s11
	s_cselect_b32 s13, s13, s14
	s_cselect_b32 s12, s15, s12
	s_add_i32 s14, s13, 1
	s_cmp_ge_u32 s12, s11
	s_cselect_b32 s12, s14, s13
	s_mul_i32 s11, s12, s11
	s_sub_i32 s11, s29, s11
	v_and_b32_e32 v2, 15, v41
	v_lshrrev_b32_e32 v3, 4, v41
	v_lshl_or_b32 v2, s11, 4, v2
	v_lshl_add_u32 v3, s12, 4, v3
	v_cmp_gt_u32_e32 vcc, s4, v2
	v_cmp_gt_u32_e64 s[4:5], s5, v3
	s_and_b64 s[4:5], vcc, s[4:5]
	s_and_saveexec_b64 s[12:13], s[4:5]
	s_cbranch_execz .LBB48_13
; %bb.8:
	s_load_dwordx4 s[12:15], s[26:27], 0x0
	s_load_dwordx2 s[4:5], s[26:27], 0x10
	s_mul_i32 s9, s9, s28
	v_mov_b32_e32 v5, 0
	v_mov_b32_e32 v4, 0
	s_waitcnt lgkmcnt(0)
	s_cmp_eq_u64 s[14:15], 0
	s_cbranch_scc1 .LBB48_10
; %bb.9:
	s_bitcmp1_b32 s10, 0
	s_cselect_b64 vcc, -1, 0
	v_cndmask_b32_e32 v4, v3, v2, vcc
	v_mul_lo_u32 v4, v4, s6
	v_cndmask_b32_e32 v6, v2, v3, vcc
	v_mov_b32_e32 v7, 0
	v_add3_u32 v6, v6, s9, v4
	v_lshlrev_b64 v[6:7], 1, v[6:7]
	v_mov_b32_e32 v4, s15
	v_add_co_u32_e32 v6, vcc, s14, v6
	v_addc_co_u32_e32 v7, vcc, v4, v7, vcc
	global_load_ushort v4, v[6:7], off
	s_waitcnt vmcnt(0)
	v_cvt_f32_f16_e32 v4, v4
.LBB48_10:
	s_cmp_eq_u64 s[4:5], 0
	s_cbranch_scc1 .LBB48_12
; %bb.11:
	s_load_dword s6, s[26:27], 0x50
	v_mov_b32_e32 v6, 0
	v_mov_b32_e32 v7, s5
	s_waitcnt lgkmcnt(0)
	s_bitcmp1_b32 s6, 8
	s_cselect_b64 vcc, -1, 0
	v_cndmask_b32_e32 v5, v3, v2, vcc
	v_mul_lo_u32 v5, v5, s7
	v_cndmask_b32_e32 v8, v2, v3, vcc
	v_add3_u32 v5, v8, s9, v5
	v_lshlrev_b64 v[5:6], 1, v[5:6]
	v_add_co_u32_e32 v5, vcc, s4, v5
	v_addc_co_u32_e32 v6, vcc, v7, v6, vcc
	global_load_ushort v5, v[5:6], off
	s_waitcnt vmcnt(0)
	v_cvt_f32_f16_e32 v5, v5
.LBB48_12:
	v_mul_lo_u32 v3, v3, s8
	s_waitcnt vmcnt(0)
	v_mul_f32_e32 v5, v1, v5
	v_mov_b32_e32 v1, 0
	v_fma_mixlo_f16 v4, v0, v4, v5
	v_add3_u32 v0, v2, s9, v3
	v_lshlrev_b64 v[0:1], 1, v[0:1]
	v_mov_b32_e32 v2, s13
	v_add_co_u32_e32 v0, vcc, s12, v0
	v_addc_co_u32_e32 v1, vcc, v2, v1, vcc
	global_store_short v[0:1], v4, off
.LBB48_13:
	s_endpgm
	.section	.rodata,"a",@progbits
	.p2align	6, 0x0
	.amdhsa_kernel Transform_H_S_000_16_16_VW_1
		.amdhsa_group_segment_fixed_size 0
		.amdhsa_private_segment_fixed_size 64
		.amdhsa_kernarg_size 344
		.amdhsa_user_sgpr_count 8
		.amdhsa_user_sgpr_private_segment_buffer 1
		.amdhsa_user_sgpr_dispatch_ptr 0
		.amdhsa_user_sgpr_queue_ptr 0
		.amdhsa_user_sgpr_kernarg_segment_ptr 1
		.amdhsa_user_sgpr_dispatch_id 0
		.amdhsa_user_sgpr_flat_scratch_init 1
		.amdhsa_user_sgpr_private_segment_size 0
		.amdhsa_uses_dynamic_stack 0
		.amdhsa_system_sgpr_private_segment_wavefront_offset 1
		.amdhsa_system_sgpr_workgroup_id_x 1
		.amdhsa_system_sgpr_workgroup_id_y 0
		.amdhsa_system_sgpr_workgroup_id_z 1
		.amdhsa_system_sgpr_workgroup_info 0
		.amdhsa_system_vgpr_workitem_id 0
		.amdhsa_next_free_vgpr 42
		.amdhsa_next_free_sgpr 34
		.amdhsa_reserve_vcc 1
		.amdhsa_reserve_flat_scratch 1
		.amdhsa_float_round_mode_32 0
		.amdhsa_float_round_mode_16_64 0
		.amdhsa_float_denorm_mode_32 3
		.amdhsa_float_denorm_mode_16_64 3
		.amdhsa_dx10_clamp 1
		.amdhsa_ieee_mode 1
		.amdhsa_fp16_overflow 0
		.amdhsa_exception_fp_ieee_invalid_op 0
		.amdhsa_exception_fp_denorm_src 0
		.amdhsa_exception_fp_ieee_div_zero 0
		.amdhsa_exception_fp_ieee_overflow 0
		.amdhsa_exception_fp_ieee_underflow 0
		.amdhsa_exception_fp_ieee_inexact 0
		.amdhsa_exception_int_div_zero 0
	.end_amdhsa_kernel
	.text
.Lfunc_end48:
	.size	Transform_H_S_000_16_16_VW_1, .Lfunc_end48-Transform_H_S_000_16_16_VW_1
                                        ; -- End function
	.set Transform_H_S_000_16_16_VW_1.num_vgpr, max(42, .L__assert_fail.num_vgpr)
	.set Transform_H_S_000_16_16_VW_1.num_agpr, max(0, .L__assert_fail.num_agpr)
	.set Transform_H_S_000_16_16_VW_1.numbered_sgpr, max(33, .L__assert_fail.numbered_sgpr)
	.set Transform_H_S_000_16_16_VW_1.num_named_barrier, max(0, .L__assert_fail.num_named_barrier)
	.set Transform_H_S_000_16_16_VW_1.private_seg_size, 0+max(.L__assert_fail.private_seg_size)
	.set Transform_H_S_000_16_16_VW_1.uses_vcc, or(1, .L__assert_fail.uses_vcc)
	.set Transform_H_S_000_16_16_VW_1.uses_flat_scratch, or(1, .L__assert_fail.uses_flat_scratch)
	.set Transform_H_S_000_16_16_VW_1.has_dyn_sized_stack, or(0, .L__assert_fail.has_dyn_sized_stack)
	.set Transform_H_S_000_16_16_VW_1.has_recursion, or(0, .L__assert_fail.has_recursion)
	.set Transform_H_S_000_16_16_VW_1.has_indirect_call, or(0, .L__assert_fail.has_indirect_call)
	.section	.AMDGPU.csdata,"",@progbits
; Kernel info:
; codeLenInByte = 680
; TotalNumSgprs: 40
; NumVgprs: 42
; ScratchSize: 64
; MemoryBound: 0
; FloatMode: 240
; IeeeMode: 1
; LDSByteSize: 0 bytes/workgroup (compile time only)
; SGPRBlocks: 4
; VGPRBlocks: 10
; NumSGPRsForWavesPerEU: 40
; NumVGPRsForWavesPerEU: 42
; Occupancy: 5
; WaveLimiterHint : 1
; COMPUTE_PGM_RSRC2:SCRATCH_EN: 1
; COMPUTE_PGM_RSRC2:USER_SGPR: 8
; COMPUTE_PGM_RSRC2:TRAP_HANDLER: 0
; COMPUTE_PGM_RSRC2:TGID_X_EN: 1
; COMPUTE_PGM_RSRC2:TGID_Y_EN: 0
; COMPUTE_PGM_RSRC2:TGID_Z_EN: 1
; COMPUTE_PGM_RSRC2:TIDIG_COMP_CNT: 0
	.text
	.protected	Transform_H_S_000_16_16_VW_4 ; -- Begin function Transform_H_S_000_16_16_VW_4
	.globl	Transform_H_S_000_16_16_VW_4
	.p2align	8
	.type	Transform_H_S_000_16_16_VW_4,@function
Transform_H_S_000_16_16_VW_4:           ; @Transform_H_S_000_16_16_VW_4
; %bb.0:
	s_mov_b64 s[26:27], s[4:5]
	s_load_dword s4, s[4:5], 0x64
	s_add_u32 flat_scratch_lo, s6, s10
	s_addc_u32 flat_scratch_hi, s7, 0
	s_add_u32 s0, s0, s10
	s_addc_u32 s1, s1, 0
	s_waitcnt lgkmcnt(0)
	s_and_b32 s4, s4, 0xffff
	s_mov_b32 s29, s9
	s_mov_b32 s28, s8
	v_mov_b32_e32 v41, v0
	s_cmpk_eq_i32 s4, 0x100
	s_mov_b64 s[4:5], -1
	s_mov_b32 s32, 0
	s_cbranch_scc1 .LBB49_2
; %bb.1:
	s_add_u32 s8, s26, 0x58
	s_addc_u32 s9, s27, 0
	s_getpc_b64 s[4:5]
	s_add_u32 s4, s4, __PRETTY_FUNCTION__._ZN10amd_detail9transformIDF16_fLb0ELb0ELb0ELj16ELj16ELj4EEEvPT_PKS1_S4_T0_PKS5_S5_S7_jjjjjjbb@rel32@lo+4
	s_addc_u32 s5, s5, __PRETTY_FUNCTION__._ZN10amd_detail9transformIDF16_fLb0ELb0ELb0ELj16ELj16ELj4EEEvPT_PKS1_S4_T0_PKS5_S5_S7_jjjjjjbb@rel32@hi+12
	s_getpc_b64 s[6:7]
	s_add_u32 s6, s6, __assert_fail@rel32@lo+4
	s_addc_u32 s7, s7, __assert_fail@rel32@hi+12
	v_mov_b32_e32 v0, s4
	v_mov_b32_e32 v1, s5
	s_swappc_b64 s[30:31], s[6:7]
	s_mov_b64 s[4:5], 0
	; divergent unreachable
.LBB49_2:
	s_andn2_b64 vcc, exec, s[4:5]
	s_cbranch_vccnz .LBB49_54
; %bb.3:
	s_load_dwordx8 s[12:19], s[26:27], 0x38
	s_waitcnt lgkmcnt(0)
	s_lshr_b32 s6, s12, 6
	s_and_b32 s4, s12, 63
	s_cmp_lg_u32 s4, 0
	s_cselect_b64 s[4:5], -1, 0
	s_cmp_lg_u64 s[4:5], 0
	s_addc_u32 s6, s6, 0
	v_cvt_f32_u32_e32 v0, s6
	s_load_dword s8, s[26:27], 0x18
	s_load_dwordx2 s[4:5], s[26:27], 0x20
	s_sub_i32 s7, 0, s6
	v_rcp_iflag_f32_e32 v0, v0
	s_waitcnt lgkmcnt(0)
	v_mov_b32_e32 v6, s8
	v_mul_f32_e32 v0, 0x4f7ffffe, v0
	v_cvt_u32_f32_e32 v0, v0
	v_readfirstlane_b32 s9, v0
	s_mul_i32 s7, s7, s9
	s_mul_hi_u32 s7, s9, s7
	s_add_i32 s9, s9, s7
	s_mul_hi_u32 s7, s28, s9
	s_cmp_eq_u64 s[4:5], 0
	s_cbranch_scc1 .LBB49_5
; %bb.4:
	v_mov_b32_e32 v0, 0
	global_load_dword v6, v0, s[4:5]
.LBB49_5:
	s_load_dwordx2 s[4:5], s[26:27], 0x30
	s_load_dword s8, s[26:27], 0x28
	s_waitcnt lgkmcnt(0)
	s_cmp_eq_u64 s[4:5], 0
	v_mov_b32_e32 v9, s8
	s_cbranch_scc1 .LBB49_7
; %bb.6:
	v_mov_b32_e32 v0, 0
	global_load_dword v9, v0, s[4:5]
.LBB49_7:
	s_mul_i32 s4, s7, s6
	s_sub_i32 s4, s28, s4
	s_add_i32 s5, s7, 1
	s_sub_i32 s8, s4, s6
	s_cmp_ge_u32 s4, s6
	s_cselect_b32 s5, s5, s7
	s_cselect_b32 s4, s8, s4
	s_add_i32 s7, s5, 1
	s_cmp_ge_u32 s4, s6
	s_cselect_b32 s30, s7, s5
	v_lshrrev_b32_e32 v0, 4, v41
	v_lshl_add_u32 v0, s30, 4, v0
	v_cmp_gt_u32_e32 vcc, s13, v0
	s_and_saveexec_b64 s[4:5], vcc
	s_cbranch_execz .LBB49_54
; %bb.8:
	s_mul_i32 s30, s30, s6
	v_lshlrev_b32_e32 v1, 2, v41
	s_sub_i32 s4, s28, s30
	v_and_b32_e32 v7, 60, v1
	v_lshl_or_b32 v10, s4, 6, v7
	v_add_u32_e32 v11, 4, v10
	s_load_dwordx4 s[20:23], s[26:27], 0x0
	s_load_dwordx2 s[24:25], s[26:27], 0x10
	v_sub_u32_e64 v8, v11, s12 clamp
	v_sub_u32_e32 v1, v10, v8
	v_mad_u64_u32 v[2:3], s[4:5], v0, s14, v[1:2]
	s_bitcmp1_b32 s18, 0
	s_cselect_b64 vcc, -1, 0
	s_waitcnt lgkmcnt(0)
	s_cmp_lg_u64 s[22:23], 0
	s_mul_i32 s13, s17, s29
	s_cselect_b64 s[10:11], -1, 0
	s_cmp_eq_u64 s[22:23], 0
	v_mov_b32_e32 v12, 0
	v_mov_b32_e32 v13, 0
	s_cbranch_scc1 .LBB49_10
; %bb.9:
	v_mad_u64_u32 v[3:4], s[4:5], v1, s14, v[0:1]
	v_mov_b32_e32 v4, 0
	v_mov_b32_e32 v5, s23
	v_cndmask_b32_e32 v3, v2, v3, vcc
	v_add_u32_e32 v3, s13, v3
	v_lshlrev_b64 v[3:4], 1, v[3:4]
	v_add_co_u32_e64 v3, s[4:5], s22, v3
	v_addc_co_u32_e64 v4, s[4:5], v5, v4, s[4:5]
	global_load_ushort v3, v[3:4], off
	s_waitcnt vmcnt(0)
	v_cvt_f32_f16_e32 v13, v3
.LBB49_10:
	s_load_dword s6, s[26:27], 0x50
	s_xor_b64 s[8:9], vcc, -1
	v_mad_u64_u32 v[3:4], s[4:5], v0, s15, v[1:2]
	v_mul_lo_u32 v14, v1, s15
	s_waitcnt lgkmcnt(0)
	s_bitcmp1_b32 s6, 8
	s_cselect_b64 s[6:7], -1, 0
	s_cmp_lg_u64 s[24:25], 0
	s_cselect_b64 s[18:19], -1, 0
	s_cmp_eq_u64 s[24:25], 0
	s_cbranch_scc1 .LBB49_12
; %bb.11:
	v_add_u32_e32 v4, v14, v0
	v_cndmask_b32_e64 v4, v3, v4, s[6:7]
	v_add_u32_e32 v4, s13, v4
	v_mov_b32_e32 v5, 0
	v_lshlrev_b64 v[4:5], 1, v[4:5]
	v_mov_b32_e32 v12, s25
	v_add_co_u32_e32 v4, vcc, s24, v4
	v_addc_co_u32_e32 v5, vcc, v12, v5, vcc
	global_load_ushort v4, v[4:5], off
	s_waitcnt vmcnt(0)
	v_cvt_f32_f16_e32 v12, v4
.LBB49_12:
	v_cndmask_b32_e64 v4, 0, 1, s[8:9]
	v_cmp_ne_u32_e64 s[4:5], 1, v4
	s_andn2_b64 vcc, exec, s[8:9]
	s_cbranch_vccnz .LBB49_14
; %bb.13:
	v_add_u32_e32 v4, 1, v2
	s_xor_b64 s[8:9], s[6:7], -1
	s_cbranch_execz .LBB49_15
	s_branch .LBB49_16
.LBB49_14:
                                        ; implicit-def: $vgpr4
	s_xor_b64 s[8:9], s[6:7], -1
.LBB49_15:
	v_mul_lo_u32 v4, s14, v1
	v_add3_u32 v4, v4, s14, v0
.LBB49_16:
	v_cndmask_b32_e64 v5, 0, 1, s[8:9]
	v_cmp_ne_u32_e64 s[6:7], 1, v5
	s_andn2_b64 vcc, exec, s[8:9]
	s_cbranch_vccnz .LBB49_18
; %bb.17:
	v_add_u32_e32 v5, 1, v3
	s_cbranch_execz .LBB49_19
	s_branch .LBB49_20
.LBB49_18:
                                        ; implicit-def: $vgpr5
.LBB49_19:
	v_add3_u32 v5, v14, s15, v0
.LBB49_20:
	v_cndmask_b32_e64 v16, 0, 1, s[10:11]
	v_mov_b32_e32 v15, 0
	v_cmp_ne_u32_e64 s[8:9], 1, v16
	s_andn2_b64 vcc, exec, s[10:11]
	v_mov_b32_e32 v16, 0
	s_cbranch_vccnz .LBB49_22
; %bb.21:
	v_add_u32_e32 v16, s13, v4
	v_mov_b32_e32 v17, 0
	v_lshlrev_b64 v[16:17], 1, v[16:17]
	v_mov_b32_e32 v4, s23
	v_add_co_u32_e32 v16, vcc, s22, v16
	v_addc_co_u32_e32 v17, vcc, v4, v17, vcc
	global_load_ushort v4, v[16:17], off
	s_waitcnt vmcnt(0)
	v_cvt_f32_f16_e32 v16, v4
.LBB49_22:
	v_cndmask_b32_e64 v4, 0, 1, s[18:19]
	v_cmp_ne_u32_e64 s[10:11], 1, v4
	s_andn2_b64 vcc, exec, s[18:19]
	s_cbranch_vccnz .LBB49_24
; %bb.23:
	v_add_u32_e32 v4, s13, v5
	v_mov_b32_e32 v5, 0
	v_lshlrev_b64 v[4:5], 1, v[4:5]
	v_mov_b32_e32 v15, s25
	v_add_co_u32_e32 v4, vcc, s24, v4
	v_addc_co_u32_e32 v5, vcc, v15, v5, vcc
	global_load_ushort v4, v[4:5], off
	s_waitcnt vmcnt(0)
	v_cvt_f32_f16_e32 v15, v4
.LBB49_24:
	s_and_b64 vcc, exec, s[4:5]
	s_cbranch_vccnz .LBB49_26
; %bb.25:
	v_add_u32_e32 v4, 2, v2
	s_cbranch_execz .LBB49_27
	s_branch .LBB49_28
.LBB49_26:
                                        ; implicit-def: $vgpr4
.LBB49_27:
	v_add_u32_e32 v4, 2, v1
	v_mad_u64_u32 v[4:5], s[18:19], v4, s14, v[0:1]
.LBB49_28:
	s_and_b64 vcc, exec, s[6:7]
	s_cbranch_vccnz .LBB49_30
; %bb.29:
	v_add_u32_e32 v5, 2, v3
	s_cbranch_execz .LBB49_31
	s_branch .LBB49_32
.LBB49_30:
                                        ; implicit-def: $vgpr5
.LBB49_31:
	s_lshl_b32 s17, s15, 1
	v_add3_u32 v5, v14, s17, v0
.LBB49_32:
	v_mov_b32_e32 v17, 0
	s_and_b64 vcc, exec, s[8:9]
	v_mov_b32_e32 v18, 0
	s_cbranch_vccnz .LBB49_34
; %bb.33:
	v_add_u32_e32 v18, s13, v4
	v_mov_b32_e32 v19, 0
	v_lshlrev_b64 v[18:19], 1, v[18:19]
	v_mov_b32_e32 v4, s23
	v_add_co_u32_e32 v18, vcc, s22, v18
	v_addc_co_u32_e32 v19, vcc, v4, v19, vcc
	global_load_ushort v4, v[18:19], off
	s_waitcnt vmcnt(0)
	v_cvt_f32_f16_e32 v18, v4
.LBB49_34:
	s_and_b64 vcc, exec, s[10:11]
	s_cbranch_vccnz .LBB49_36
; %bb.35:
	v_add_u32_e32 v4, s13, v5
	v_mov_b32_e32 v5, 0
	v_lshlrev_b64 v[4:5], 1, v[4:5]
	v_mov_b32_e32 v17, s25
	v_add_co_u32_e32 v4, vcc, s24, v4
	v_addc_co_u32_e32 v5, vcc, v17, v5, vcc
	global_load_ushort v4, v[4:5], off
	s_waitcnt vmcnt(0)
	v_cvt_f32_f16_e32 v17, v4
.LBB49_36:
	s_and_b64 vcc, exec, s[4:5]
	s_cbranch_vccnz .LBB49_38
; %bb.37:
	v_add_u32_e32 v4, 3, v2
	s_cbranch_execz .LBB49_39
	s_branch .LBB49_40
.LBB49_38:
                                        ; implicit-def: $vgpr4
.LBB49_39:
	v_add_u32_e32 v1, 3, v1
	v_mad_u64_u32 v[4:5], s[4:5], v1, s14, v[0:1]
.LBB49_40:
	s_and_b64 vcc, exec, s[6:7]
	s_cbranch_vccnz .LBB49_42
; %bb.41:
	v_add_u32_e32 v1, 3, v3
	s_cbranch_execz .LBB49_43
	s_branch .LBB49_44
.LBB49_42:
                                        ; implicit-def: $vgpr1
.LBB49_43:
	s_mul_i32 s4, s15, 3
	v_add3_u32 v1, v14, s4, v0
.LBB49_44:
	v_mov_b32_e32 v5, 0
	s_and_b64 vcc, exec, s[8:9]
	v_mov_b32_e32 v14, 0
	s_cbranch_vccnz .LBB49_46
; %bb.45:
	v_add_u32_e32 v2, s13, v4
	v_mov_b32_e32 v3, 0
	v_lshlrev_b64 v[2:3], 1, v[2:3]
	v_mov_b32_e32 v4, s23
	v_add_co_u32_e32 v2, vcc, s22, v2
	v_addc_co_u32_e32 v3, vcc, v4, v3, vcc
	global_load_ushort v2, v[2:3], off
	s_waitcnt vmcnt(0)
	v_cvt_f32_f16_e32 v14, v2
.LBB49_46:
	s_and_b64 vcc, exec, s[10:11]
	s_cbranch_vccnz .LBB49_48
; %bb.47:
	v_add_u32_e32 v1, s13, v1
	v_mov_b32_e32 v2, 0
	v_lshlrev_b64 v[1:2], 1, v[1:2]
	v_mov_b32_e32 v3, s25
	v_add_co_u32_e32 v1, vcc, s24, v1
	v_addc_co_u32_e32 v2, vcc, v3, v2, vcc
	global_load_ushort v1, v[1:2], off
	s_waitcnt vmcnt(0)
	v_cvt_f32_f16_e32 v5, v1
.LBB49_48:
	s_waitcnt vmcnt(0)
	v_mul_f32_e32 v1, v9, v12
	v_mul_lo_u32 v4, v0, s16
	v_fma_mixlo_f16 v3, v6, v13, v1
	v_mul_f32_e32 v1, v9, v15
	v_fma_mixlo_f16 v2, v6, v16, v1
	v_mul_f32_e32 v1, v9, v17
	v_mul_f32_e32 v0, v9, v5
	v_fma_mixlo_f16 v1, v6, v18, v1
	v_fma_mixlo_f16 v0, v6, v14, v0
	v_cmp_ge_u32_e32 vcc, s12, v11
	s_and_saveexec_b64 s[4:5], vcc
	s_xor_b64 s[4:5], exec, s[4:5]
	s_cbranch_execz .LBB49_50
; %bb.49:
	v_add_u32_e32 v5, s13, v10
	v_sub_u32_e32 v5, v5, v8
	v_add_u32_e32 v4, v5, v4
	v_mov_b32_e32 v5, 0
	v_lshlrev_b64 v[6:7], 1, v[4:5]
	v_mov_b32_e32 v8, s21
	v_add_co_u32_e32 v6, vcc, s20, v6
	v_addc_co_u32_e32 v7, vcc, v8, v7, vcc
	global_store_short v[6:7], v3, off
	v_add_u32_e32 v6, 1, v4
	v_mov_b32_e32 v7, v5
	v_lshlrev_b64 v[6:7], 1, v[6:7]
	v_mov_b32_e32 v3, s21
	v_add_co_u32_e32 v6, vcc, s20, v6
	v_addc_co_u32_e32 v7, vcc, v3, v7, vcc
	global_store_short v[6:7], v2, off
	v_add_u32_e32 v2, 2, v4
	v_mov_b32_e32 v3, v5
	v_lshlrev_b64 v[2:3], 1, v[2:3]
	v_mov_b32_e32 v6, s21
	v_add_co_u32_e32 v2, vcc, s20, v2
	v_addc_co_u32_e32 v3, vcc, v6, v3, vcc
	v_add_u32_e32 v4, 3, v4
	global_store_short v[2:3], v1, off
	v_lshlrev_b64 v[1:2], 1, v[4:5]
	v_mov_b32_e32 v3, s21
	v_add_co_u32_e32 v1, vcc, s20, v1
	v_addc_co_u32_e32 v2, vcc, v3, v2, vcc
	global_store_short v[1:2], v0, off
                                        ; implicit-def: $vgpr8
                                        ; implicit-def: $vgpr0
                                        ; implicit-def: $vgpr1
                                        ; implicit-def: $vgpr2
                                        ; implicit-def: $vgpr3
                                        ; implicit-def: $vgpr7
                                        ; implicit-def: $vgpr4
.LBB49_50:
	s_andn2_saveexec_b64 s[4:5], s[4:5]
	s_cbranch_execz .LBB49_54
; %bb.51:
	v_cmp_gt_u32_e32 vcc, 4, v8
	s_and_b64 exec, exec, vcc
	s_cbranch_execz .LBB49_54
; %bb.52:
	s_mov_b32 s4, 0x5040100
	v_perm_b32 v1, v0, v1, s4
	v_perm_b32 v0, v2, v3, s4
	v_lshl_or_b32 v2, s28, 6, v7
	s_lshl_b32 s4, s30, 6
	v_subrev_u32_e32 v3, s4, v2
	v_add_u32_e32 v5, 4, v3
	v_min_u32_e32 v7, s12, v5
	v_sub_u32_e32 v3, v3, v7
	v_add_u32_e32 v6, 3, v3
	v_add3_u32 v2, s13, v4, v2
	v_mov_b32_e32 v3, 0
	v_subrev_u32_e32 v8, s4, v2
	v_sub_u32_e32 v2, v5, v7
	v_mov_b32_e32 v5, v3
	s_mov_b64 s[6:7], 0
	v_mov_b32_e32 v7, s21
	v_mov_b32_e32 v4, v2
	;; [unrolled: 1-line block ×3, first 2 shown]
.LBB49_53:                              ; =>This Inner Loop Header: Depth=1
	v_lshlrev_b32_e32 v10, 4, v4
	v_lshlrev_b64 v[8:9], 1, v[2:3]
	v_add_co_u32_e32 v4, vcc, 1, v4
	v_add_u32_e32 v6, 1, v6
	v_addc_co_u32_e32 v5, vcc, 0, v5, vcc
	v_lshrrev_b64 v[10:11], v10, v[0:1]
	v_cmp_lt_u32_e32 vcc, 2, v6
	v_add_co_u32_e64 v8, s[4:5], s20, v8
	v_add_u32_e32 v2, 1, v2
	v_addc_co_u32_e64 v9, s[4:5], v7, v9, s[4:5]
	s_or_b64 s[6:7], vcc, s[6:7]
	global_store_short v[8:9], v10, off
	s_andn2_b64 exec, exec, s[6:7]
	s_cbranch_execnz .LBB49_53
.LBB49_54:
	s_endpgm
	.section	.rodata,"a",@progbits
	.p2align	6, 0x0
	.amdhsa_kernel Transform_H_S_000_16_16_VW_4
		.amdhsa_group_segment_fixed_size 0
		.amdhsa_private_segment_fixed_size 64
		.amdhsa_kernarg_size 344
		.amdhsa_user_sgpr_count 8
		.amdhsa_user_sgpr_private_segment_buffer 1
		.amdhsa_user_sgpr_dispatch_ptr 0
		.amdhsa_user_sgpr_queue_ptr 0
		.amdhsa_user_sgpr_kernarg_segment_ptr 1
		.amdhsa_user_sgpr_dispatch_id 0
		.amdhsa_user_sgpr_flat_scratch_init 1
		.amdhsa_user_sgpr_private_segment_size 0
		.amdhsa_uses_dynamic_stack 0
		.amdhsa_system_sgpr_private_segment_wavefront_offset 1
		.amdhsa_system_sgpr_workgroup_id_x 1
		.amdhsa_system_sgpr_workgroup_id_y 0
		.amdhsa_system_sgpr_workgroup_id_z 1
		.amdhsa_system_sgpr_workgroup_info 0
		.amdhsa_system_vgpr_workitem_id 0
		.amdhsa_next_free_vgpr 42
		.amdhsa_next_free_sgpr 34
		.amdhsa_reserve_vcc 1
		.amdhsa_reserve_flat_scratch 1
		.amdhsa_float_round_mode_32 0
		.amdhsa_float_round_mode_16_64 0
		.amdhsa_float_denorm_mode_32 3
		.amdhsa_float_denorm_mode_16_64 3
		.amdhsa_dx10_clamp 1
		.amdhsa_ieee_mode 1
		.amdhsa_fp16_overflow 0
		.amdhsa_exception_fp_ieee_invalid_op 0
		.amdhsa_exception_fp_denorm_src 0
		.amdhsa_exception_fp_ieee_div_zero 0
		.amdhsa_exception_fp_ieee_overflow 0
		.amdhsa_exception_fp_ieee_underflow 0
		.amdhsa_exception_fp_ieee_inexact 0
		.amdhsa_exception_int_div_zero 0
	.end_amdhsa_kernel
	.text
.Lfunc_end49:
	.size	Transform_H_S_000_16_16_VW_4, .Lfunc_end49-Transform_H_S_000_16_16_VW_4
                                        ; -- End function
	.set Transform_H_S_000_16_16_VW_4.num_vgpr, max(42, .L__assert_fail.num_vgpr)
	.set Transform_H_S_000_16_16_VW_4.num_agpr, max(0, .L__assert_fail.num_agpr)
	.set Transform_H_S_000_16_16_VW_4.numbered_sgpr, max(33, .L__assert_fail.numbered_sgpr)
	.set Transform_H_S_000_16_16_VW_4.num_named_barrier, max(0, .L__assert_fail.num_named_barrier)
	.set Transform_H_S_000_16_16_VW_4.private_seg_size, 0+max(.L__assert_fail.private_seg_size)
	.set Transform_H_S_000_16_16_VW_4.uses_vcc, or(1, .L__assert_fail.uses_vcc)
	.set Transform_H_S_000_16_16_VW_4.uses_flat_scratch, or(1, .L__assert_fail.uses_flat_scratch)
	.set Transform_H_S_000_16_16_VW_4.has_dyn_sized_stack, or(0, .L__assert_fail.has_dyn_sized_stack)
	.set Transform_H_S_000_16_16_VW_4.has_recursion, or(0, .L__assert_fail.has_recursion)
	.set Transform_H_S_000_16_16_VW_4.has_indirect_call, or(0, .L__assert_fail.has_indirect_call)
	.section	.AMDGPU.csdata,"",@progbits
; Kernel info:
; codeLenInByte = 1676
; TotalNumSgprs: 40
; NumVgprs: 42
; ScratchSize: 64
; MemoryBound: 0
; FloatMode: 240
; IeeeMode: 1
; LDSByteSize: 0 bytes/workgroup (compile time only)
; SGPRBlocks: 4
; VGPRBlocks: 10
; NumSGPRsForWavesPerEU: 40
; NumVGPRsForWavesPerEU: 42
; Occupancy: 5
; WaveLimiterHint : 1
; COMPUTE_PGM_RSRC2:SCRATCH_EN: 1
; COMPUTE_PGM_RSRC2:USER_SGPR: 8
; COMPUTE_PGM_RSRC2:TRAP_HANDLER: 0
; COMPUTE_PGM_RSRC2:TGID_X_EN: 1
; COMPUTE_PGM_RSRC2:TGID_Y_EN: 0
; COMPUTE_PGM_RSRC2:TGID_Z_EN: 1
; COMPUTE_PGM_RSRC2:TIDIG_COMP_CNT: 0
	.text
	.protected	Transform_BF16_S_111_16_16_VW_1 ; -- Begin function Transform_BF16_S_111_16_16_VW_1
	.globl	Transform_BF16_S_111_16_16_VW_1
	.p2align	8
	.type	Transform_BF16_S_111_16_16_VW_1,@function
Transform_BF16_S_111_16_16_VW_1:        ; @Transform_BF16_S_111_16_16_VW_1
; %bb.0:
	s_mov_b64 s[26:27], s[4:5]
	s_load_dword s4, s[4:5], 0x64
	s_add_u32 flat_scratch_lo, s6, s10
	s_addc_u32 flat_scratch_hi, s7, 0
	s_add_u32 s0, s0, s10
	s_addc_u32 s1, s1, 0
	s_waitcnt lgkmcnt(0)
	s_and_b32 s4, s4, 0xffff
	s_mov_b32 s28, s9
	s_mov_b32 s29, s8
	v_mov_b32_e32 v41, v0
	s_cmpk_eq_i32 s4, 0x100
	s_mov_b64 s[4:5], -1
	s_mov_b32 s32, 0
	s_cbranch_scc1 .LBB50_2
; %bb.1:
	s_add_u32 s8, s26, 0x58
	s_addc_u32 s9, s27, 0
	s_getpc_b64 s[4:5]
	s_add_u32 s4, s4, __PRETTY_FUNCTION__._ZN10amd_detail9transformI12hip_bfloat16fLb1ELb1ELb1ELj16ELj16ELj1EEEvPT_PKS2_S5_T0_PKS6_S6_S8_jjjjjjbb@rel32@lo+4
	s_addc_u32 s5, s5, __PRETTY_FUNCTION__._ZN10amd_detail9transformI12hip_bfloat16fLb1ELb1ELb1ELj16ELj16ELj1EEEvPT_PKS2_S5_T0_PKS6_S6_S8_jjjjjjbb@rel32@hi+12
	s_getpc_b64 s[6:7]
	s_add_u32 s6, s6, __assert_fail@rel32@lo+4
	s_addc_u32 s7, s7, __assert_fail@rel32@hi+12
	v_mov_b32_e32 v0, s4
	v_mov_b32_e32 v1, s5
	s_swappc_b64 s[30:31], s[6:7]
	s_mov_b64 s[4:5], 0
	; divergent unreachable
.LBB50_2:
	s_andn2_b64 vcc, exec, s[4:5]
	s_cbranch_vccnz .LBB50_17
; %bb.3:
	s_load_dwordx8 s[4:11], s[26:27], 0x38
	s_waitcnt lgkmcnt(0)
	s_lshr_b32 s11, s4, 4
	s_and_b32 s12, s4, 15
	s_cmp_lg_u32 s12, 0
	s_cselect_b64 s[12:13], -1, 0
	s_cmp_lg_u64 s[12:13], 0
	s_addc_u32 s11, s11, 0
	v_cvt_f32_u32_e32 v0, s11
	s_load_dword s15, s[26:27], 0x18
	s_load_dwordx2 s[12:13], s[26:27], 0x20
	s_sub_i32 s14, 0, s11
	v_rcp_iflag_f32_e32 v0, v0
	s_waitcnt lgkmcnt(0)
	v_mov_b32_e32 v2, s15
	v_mul_f32_e32 v0, 0x4f7ffffe, v0
	v_cvt_u32_f32_e32 v0, v0
	v_readfirstlane_b32 s16, v0
	s_mul_i32 s14, s14, s16
	s_mul_hi_u32 s14, s16, s14
	s_add_i32 s16, s16, s14
	s_mul_hi_u32 s14, s29, s16
	s_cmp_eq_u64 s[12:13], 0
	s_cbranch_scc1 .LBB50_5
; %bb.4:
	v_mov_b32_e32 v0, 0
	global_load_dword v2, v0, s[12:13]
.LBB50_5:
	s_load_dwordx2 s[12:13], s[26:27], 0x30
	s_load_dword s15, s[26:27], 0x28
	s_waitcnt lgkmcnt(0)
	s_cmp_eq_u64 s[12:13], 0
	v_mov_b32_e32 v3, s15
	s_cbranch_scc1 .LBB50_7
; %bb.6:
	v_mov_b32_e32 v0, 0
	global_load_dword v3, v0, s[12:13]
.LBB50_7:
	s_mul_i32 s12, s14, s11
	s_sub_i32 s12, s29, s12
	s_add_i32 s13, s14, 1
	s_sub_i32 s15, s12, s11
	s_cmp_ge_u32 s12, s11
	s_cselect_b32 s13, s13, s14
	s_cselect_b32 s12, s15, s12
	s_add_i32 s14, s13, 1
	s_cmp_ge_u32 s12, s11
	s_cselect_b32 s12, s14, s13
	s_mul_i32 s11, s12, s11
	s_sub_i32 s11, s29, s11
	v_and_b32_e32 v0, 15, v41
	v_lshrrev_b32_e32 v4, 4, v41
	v_lshl_or_b32 v1, s11, 4, v0
	v_lshl_add_u32 v0, s12, 4, v4
	v_cmp_gt_u32_e32 vcc, s4, v1
	v_cmp_gt_u32_e64 s[4:5], s5, v0
	s_and_b64 s[4:5], vcc, s[4:5]
	s_and_saveexec_b64 s[12:13], s[4:5]
	s_cbranch_execz .LBB50_17
; %bb.8:
	s_load_dwordx4 s[12:15], s[26:27], 0x0
	s_load_dwordx2 s[4:5], s[26:27], 0x10
	s_mul_i32 s9, s9, s28
	v_mov_b32_e32 v5, 0
	v_mov_b32_e32 v4, 0
	s_waitcnt lgkmcnt(0)
	s_cmp_eq_u64 s[14:15], 0
	s_cbranch_scc1 .LBB50_10
; %bb.9:
	s_bitcmp1_b32 s10, 0
	s_cselect_b64 vcc, -1, 0
	v_cndmask_b32_e32 v4, v1, v0, vcc
	v_mul_lo_u32 v4, v4, s6
	v_cndmask_b32_e32 v6, v0, v1, vcc
	v_mov_b32_e32 v7, 0
	v_add3_u32 v6, v6, s9, v4
	v_lshlrev_b64 v[6:7], 1, v[6:7]
	v_mov_b32_e32 v4, s15
	v_add_co_u32_e32 v6, vcc, s14, v6
	v_addc_co_u32_e32 v7, vcc, v4, v7, vcc
	global_load_ushort v4, v[6:7], off
	s_waitcnt vmcnt(0)
	v_lshlrev_b32_e32 v4, 16, v4
.LBB50_10:
	s_cmp_eq_u64 s[4:5], 0
	s_cbranch_scc1 .LBB50_12
; %bb.11:
	s_load_dword s6, s[26:27], 0x50
	v_mov_b32_e32 v6, 0
	v_mov_b32_e32 v7, s5
	s_waitcnt lgkmcnt(0)
	s_bitcmp1_b32 s6, 8
	s_cselect_b64 vcc, -1, 0
	v_cndmask_b32_e32 v5, v1, v0, vcc
	v_mul_lo_u32 v5, v5, s7
	v_cndmask_b32_e32 v8, v0, v1, vcc
	v_add3_u32 v5, v8, s9, v5
	v_lshlrev_b64 v[5:6], 1, v[5:6]
	v_add_co_u32_e32 v5, vcc, s4, v5
	v_addc_co_u32_e32 v6, vcc, v7, v6, vcc
	global_load_ushort v5, v[5:6], off
	s_waitcnt vmcnt(0)
	v_lshlrev_b32_e32 v5, 16, v5
.LBB50_12:
	s_waitcnt vmcnt(0)
	v_mul_f32_e32 v3, v3, v5
	v_fmac_f32_e32 v3, v2, v4
	s_mov_b32 s4, 0x7f800000
	v_and_b32_e32 v2, 0x7f800000, v3
	v_cmp_ne_u32_e32 vcc, s4, v2
                                        ; implicit-def: $vgpr2
	s_and_saveexec_b64 s[4:5], vcc
	s_xor_b64 s[4:5], exec, s[4:5]
; %bb.13:
	v_bfe_u32 v2, v3, 16, 1
	s_movk_i32 s6, 0x7fff
	v_add3_u32 v2, v3, v2, s6
                                        ; implicit-def: $vgpr3
; %bb.14:
	s_andn2_saveexec_b64 s[4:5], s[4:5]
; %bb.15:
	v_mov_b32_e32 v2, 0
	v_or_b32_e32 v4, 0x10000, v3
	v_cmp_eq_u32_sdwa vcc, v3, v2 src0_sel:WORD_0 src1_sel:DWORD
	v_cndmask_b32_e32 v2, v4, v3, vcc
; %bb.16:
	s_or_b64 exec, exec, s[4:5]
	v_mul_lo_u32 v3, v1, s8
	v_mov_b32_e32 v1, 0
	v_mov_b32_e32 v4, s13
	v_add3_u32 v0, v0, s9, v3
	v_lshlrev_b64 v[0:1], 1, v[0:1]
	v_add_co_u32_e32 v0, vcc, s12, v0
	v_addc_co_u32_e32 v1, vcc, v4, v1, vcc
	global_store_short_d16_hi v[0:1], v2, off
.LBB50_17:
	s_endpgm
	.section	.rodata,"a",@progbits
	.p2align	6, 0x0
	.amdhsa_kernel Transform_BF16_S_111_16_16_VW_1
		.amdhsa_group_segment_fixed_size 0
		.amdhsa_private_segment_fixed_size 64
		.amdhsa_kernarg_size 344
		.amdhsa_user_sgpr_count 8
		.amdhsa_user_sgpr_private_segment_buffer 1
		.amdhsa_user_sgpr_dispatch_ptr 0
		.amdhsa_user_sgpr_queue_ptr 0
		.amdhsa_user_sgpr_kernarg_segment_ptr 1
		.amdhsa_user_sgpr_dispatch_id 0
		.amdhsa_user_sgpr_flat_scratch_init 1
		.amdhsa_user_sgpr_private_segment_size 0
		.amdhsa_uses_dynamic_stack 0
		.amdhsa_system_sgpr_private_segment_wavefront_offset 1
		.amdhsa_system_sgpr_workgroup_id_x 1
		.amdhsa_system_sgpr_workgroup_id_y 0
		.amdhsa_system_sgpr_workgroup_id_z 1
		.amdhsa_system_sgpr_workgroup_info 0
		.amdhsa_system_vgpr_workitem_id 0
		.amdhsa_next_free_vgpr 42
		.amdhsa_next_free_sgpr 34
		.amdhsa_reserve_vcc 1
		.amdhsa_reserve_flat_scratch 1
		.amdhsa_float_round_mode_32 0
		.amdhsa_float_round_mode_16_64 0
		.amdhsa_float_denorm_mode_32 3
		.amdhsa_float_denorm_mode_16_64 3
		.amdhsa_dx10_clamp 1
		.amdhsa_ieee_mode 1
		.amdhsa_fp16_overflow 0
		.amdhsa_exception_fp_ieee_invalid_op 0
		.amdhsa_exception_fp_denorm_src 0
		.amdhsa_exception_fp_ieee_div_zero 0
		.amdhsa_exception_fp_ieee_overflow 0
		.amdhsa_exception_fp_ieee_underflow 0
		.amdhsa_exception_fp_ieee_inexact 0
		.amdhsa_exception_int_div_zero 0
	.end_amdhsa_kernel
	.text
.Lfunc_end50:
	.size	Transform_BF16_S_111_16_16_VW_1, .Lfunc_end50-Transform_BF16_S_111_16_16_VW_1
                                        ; -- End function
	.set Transform_BF16_S_111_16_16_VW_1.num_vgpr, max(42, .L__assert_fail.num_vgpr)
	.set Transform_BF16_S_111_16_16_VW_1.num_agpr, max(0, .L__assert_fail.num_agpr)
	.set Transform_BF16_S_111_16_16_VW_1.numbered_sgpr, max(33, .L__assert_fail.numbered_sgpr)
	.set Transform_BF16_S_111_16_16_VW_1.num_named_barrier, max(0, .L__assert_fail.num_named_barrier)
	.set Transform_BF16_S_111_16_16_VW_1.private_seg_size, 0+max(.L__assert_fail.private_seg_size)
	.set Transform_BF16_S_111_16_16_VW_1.uses_vcc, or(1, .L__assert_fail.uses_vcc)
	.set Transform_BF16_S_111_16_16_VW_1.uses_flat_scratch, or(1, .L__assert_fail.uses_flat_scratch)
	.set Transform_BF16_S_111_16_16_VW_1.has_dyn_sized_stack, or(0, .L__assert_fail.has_dyn_sized_stack)
	.set Transform_BF16_S_111_16_16_VW_1.has_recursion, or(0, .L__assert_fail.has_recursion)
	.set Transform_BF16_S_111_16_16_VW_1.has_indirect_call, or(0, .L__assert_fail.has_indirect_call)
	.section	.AMDGPU.csdata,"",@progbits
; Kernel info:
; codeLenInByte = 756
; TotalNumSgprs: 40
; NumVgprs: 42
; ScratchSize: 64
; MemoryBound: 0
; FloatMode: 240
; IeeeMode: 1
; LDSByteSize: 0 bytes/workgroup (compile time only)
; SGPRBlocks: 4
; VGPRBlocks: 10
; NumSGPRsForWavesPerEU: 40
; NumVGPRsForWavesPerEU: 42
; Occupancy: 5
; WaveLimiterHint : 1
; COMPUTE_PGM_RSRC2:SCRATCH_EN: 1
; COMPUTE_PGM_RSRC2:USER_SGPR: 8
; COMPUTE_PGM_RSRC2:TRAP_HANDLER: 0
; COMPUTE_PGM_RSRC2:TGID_X_EN: 1
; COMPUTE_PGM_RSRC2:TGID_Y_EN: 0
; COMPUTE_PGM_RSRC2:TGID_Z_EN: 1
; COMPUTE_PGM_RSRC2:TIDIG_COMP_CNT: 0
	.text
	.protected	Transform_BF16_S_111_16_16_VW_4 ; -- Begin function Transform_BF16_S_111_16_16_VW_4
	.globl	Transform_BF16_S_111_16_16_VW_4
	.p2align	8
	.type	Transform_BF16_S_111_16_16_VW_4,@function
Transform_BF16_S_111_16_16_VW_4:        ; @Transform_BF16_S_111_16_16_VW_4
; %bb.0:
	s_mov_b64 s[26:27], s[4:5]
	s_load_dword s4, s[6:7], 0x64
	s_add_u32 flat_scratch_lo, s8, s12
	s_addc_u32 flat_scratch_hi, s9, 0
	s_add_u32 s0, s0, s12
	s_addc_u32 s1, s1, 0
	s_waitcnt lgkmcnt(0)
	s_and_b32 s4, s4, 0xffff
	s_mov_b32 s35, s11
	s_mov_b32 s34, s10
	s_mov_b64 s[28:29], s[6:7]
	v_mov_b32_e32 v41, v2
	v_mov_b32_e32 v43, v1
	;; [unrolled: 1-line block ×3, first 2 shown]
	s_cmpk_eq_i32 s4, 0x100
	s_mov_b64 s[4:5], -1
	s_mov_b32 s32, 0
	s_cbranch_scc1 .LBB51_2
; %bb.1:
	s_add_u32 s8, s28, 0x58
	s_addc_u32 s9, s29, 0
	s_getpc_b64 s[4:5]
	s_add_u32 s4, s4, __PRETTY_FUNCTION__._ZN10amd_detail9transformI12hip_bfloat16fLb1ELb1ELb1ELj16ELj16ELj4EEEvPT_PKS2_S5_T0_PKS6_S6_S8_jjjjjjbb@rel32@lo+4
	s_addc_u32 s5, s5, __PRETTY_FUNCTION__._ZN10amd_detail9transformI12hip_bfloat16fLb1ELb1ELb1ELj16ELj16ELj4EEEvPT_PKS2_S5_T0_PKS6_S6_S8_jjjjjjbb@rel32@hi+12
	s_getpc_b64 s[6:7]
	s_add_u32 s6, s6, __assert_fail@rel32@lo+4
	s_addc_u32 s7, s7, __assert_fail@rel32@hi+12
	v_mov_b32_e32 v0, s4
	v_mov_b32_e32 v1, s5
	s_swappc_b64 s[30:31], s[6:7]
	s_mov_b64 s[4:5], 0
	; divergent unreachable
.LBB51_2:
	s_andn2_b64 vcc, exec, s[4:5]
	s_cbranch_vccnz .LBB51_70
; %bb.3:
	s_load_dwordx4 s[12:15], s[28:29], 0x38
	s_waitcnt lgkmcnt(0)
	s_lshr_b32 s6, s12, 4
	s_and_b32 s4, s12, 15
	s_cmp_lg_u32 s4, 0
	s_cselect_b64 s[4:5], -1, 0
	s_cmp_lg_u64 s[4:5], 0
	s_addc_u32 s6, s6, 0
	v_cvt_f32_u32_e32 v0, s6
	s_load_dword s8, s[28:29], 0x18
	s_load_dwordx2 s[4:5], s[28:29], 0x20
	s_sub_i32 s7, 0, s6
	v_rcp_iflag_f32_e32 v0, v0
	s_waitcnt lgkmcnt(0)
	v_mov_b32_e32 v11, s8
	v_mul_f32_e32 v0, 0x4f7ffffe, v0
	v_cvt_u32_f32_e32 v0, v0
	v_readfirstlane_b32 s9, v0
	s_mul_i32 s7, s7, s9
	s_mul_hi_u32 s7, s9, s7
	s_add_i32 s9, s9, s7
	s_mul_hi_u32 s7, s34, s9
	s_cmp_eq_u64 s[4:5], 0
	s_cbranch_scc1 .LBB51_5
; %bb.4:
	v_mov_b32_e32 v0, 0
	global_load_dword v11, v0, s[4:5]
.LBB51_5:
	s_load_dwordx2 s[4:5], s[28:29], 0x30
	s_load_dword s8, s[28:29], 0x28
	s_waitcnt lgkmcnt(0)
	s_cmp_eq_u64 s[4:5], 0
	v_mov_b32_e32 v12, s8
	s_cbranch_scc1 .LBB51_7
; %bb.6:
	v_mov_b32_e32 v0, 0
	global_load_dword v12, v0, s[4:5]
.LBB51_7:
	s_mul_i32 s4, s7, s6
	s_sub_i32 s4, s34, s4
	s_add_i32 s5, s7, 1
	s_sub_i32 s8, s4, s6
	s_cmp_ge_u32 s4, s6
	s_cselect_b32 s5, s5, s7
	s_cselect_b32 s4, s8, s4
	s_add_i32 s7, s5, 1
	s_cmp_ge_u32 s4, s6
	s_cselect_b32 s30, s7, s5
	s_mul_i32 s31, s30, s6
	s_sub_i32 s4, s34, s31
	v_and_b32_e32 v6, 15, v42
	v_lshl_or_b32 v0, s4, 4, v6
	v_cmp_gt_u32_e32 vcc, s12, v0
	s_and_saveexec_b64 s[4:5], vcc
	s_cbranch_execz .LBB51_70
; %bb.8:
	v_lshrrev_b32_e32 v1, 2, v42
	s_lshl_b32 s12, s30, 6
	v_and_b32_e32 v8, 0xfc, v1
	s_load_dwordx4 s[20:23], s[28:29], 0x48
	v_add_u32_e32 v7, s12, v8
	v_add_u32_e32 v10, 4, v7
	v_sub_u32_e64 v9, v10, s13 clamp
	s_load_dwordx4 s[16:19], s[28:29], 0x0
	s_load_dwordx2 s[24:25], s[28:29], 0x10
	v_sub_u32_e32 v1, v7, v9
	v_mad_u64_u32 v[2:3], s[4:5], v0, s14, v[1:2]
	s_waitcnt lgkmcnt(0)
	s_bitcmp1_b32 s22, 0
	s_cselect_b64 vcc, -1, 0
	s_cmp_lg_u64 s[18:19], 0
	s_mul_i32 s21, s21, s35
	s_cselect_b64 s[10:11], -1, 0
	s_cmp_eq_u64 s[18:19], 0
	v_mov_b32_e32 v13, 0
	v_mov_b32_e32 v14, 0
	s_cbranch_scc1 .LBB51_10
; %bb.9:
	v_mad_u64_u32 v[3:4], s[4:5], v1, s14, v[0:1]
	v_mov_b32_e32 v4, 0
	v_mov_b32_e32 v5, s19
	v_cndmask_b32_e32 v3, v2, v3, vcc
	v_add_u32_e32 v3, s21, v3
	v_lshlrev_b64 v[3:4], 1, v[3:4]
	v_add_co_u32_e64 v3, s[4:5], s18, v3
	v_addc_co_u32_e64 v4, s[4:5], v5, v4, s[4:5]
	global_load_ushort v3, v[3:4], off
	s_waitcnt vmcnt(0)
	v_lshlrev_b32_e32 v14, 16, v3
.LBB51_10:
	s_load_dword s6, s[28:29], 0x50
	s_xor_b64 s[8:9], vcc, -1
	v_mad_u64_u32 v[3:4], s[4:5], v0, s15, v[1:2]
	v_mul_lo_u32 v15, v1, s15
	s_waitcnt lgkmcnt(0)
	s_bitcmp1_b32 s6, 8
	s_cselect_b64 s[6:7], -1, 0
	s_cmp_lg_u64 s[24:25], 0
	s_cselect_b64 s[22:23], -1, 0
	s_cmp_eq_u64 s[24:25], 0
	s_cbranch_scc1 .LBB51_12
; %bb.11:
	v_add_u32_e32 v4, v15, v0
	v_cndmask_b32_e64 v4, v3, v4, s[6:7]
	v_add_u32_e32 v4, s21, v4
	v_mov_b32_e32 v5, 0
	v_lshlrev_b64 v[4:5], 1, v[4:5]
	v_mov_b32_e32 v13, s25
	v_add_co_u32_e32 v4, vcc, s24, v4
	v_addc_co_u32_e32 v5, vcc, v13, v5, vcc
	global_load_ushort v4, v[4:5], off
	s_waitcnt vmcnt(0)
	v_lshlrev_b32_e32 v13, 16, v4
.LBB51_12:
	v_cndmask_b32_e64 v4, 0, 1, s[8:9]
	v_cmp_ne_u32_e64 s[4:5], 1, v4
	s_andn2_b64 vcc, exec, s[8:9]
	s_cbranch_vccnz .LBB51_14
; %bb.13:
	v_add_u32_e32 v4, 1, v2
	s_xor_b64 s[8:9], s[6:7], -1
	s_cbranch_execz .LBB51_15
	s_branch .LBB51_16
.LBB51_14:
                                        ; implicit-def: $vgpr4
	s_xor_b64 s[8:9], s[6:7], -1
.LBB51_15:
	v_mul_lo_u32 v4, s14, v1
	v_add3_u32 v4, v4, s14, v0
.LBB51_16:
	v_cndmask_b32_e64 v5, 0, 1, s[8:9]
	v_cmp_ne_u32_e64 s[6:7], 1, v5
	s_andn2_b64 vcc, exec, s[8:9]
	s_cbranch_vccnz .LBB51_18
; %bb.17:
	v_add_u32_e32 v5, 1, v3
	s_cbranch_execz .LBB51_19
	s_branch .LBB51_20
.LBB51_18:
                                        ; implicit-def: $vgpr5
.LBB51_19:
	v_add3_u32 v5, v15, s15, v0
.LBB51_20:
	v_cndmask_b32_e64 v16, 0, 1, s[10:11]
	v_mov_b32_e32 v17, 0
	v_cmp_ne_u32_e64 s[8:9], 1, v16
	s_andn2_b64 vcc, exec, s[10:11]
	v_mov_b32_e32 v16, 0
	s_cbranch_vccnz .LBB51_22
; %bb.21:
	v_add_u32_e32 v18, s21, v4
	v_mov_b32_e32 v19, 0
	v_lshlrev_b64 v[18:19], 1, v[18:19]
	v_mov_b32_e32 v4, s19
	v_add_co_u32_e32 v18, vcc, s18, v18
	v_addc_co_u32_e32 v19, vcc, v4, v19, vcc
	global_load_ushort v4, v[18:19], off
	s_waitcnt vmcnt(0)
	v_lshlrev_b32_e32 v16, 16, v4
.LBB51_22:
	v_cndmask_b32_e64 v4, 0, 1, s[22:23]
	v_cmp_ne_u32_e64 s[10:11], 1, v4
	s_andn2_b64 vcc, exec, s[22:23]
	s_cbranch_vccnz .LBB51_24
; %bb.23:
	v_add_u32_e32 v4, s21, v5
	v_mov_b32_e32 v5, 0
	v_lshlrev_b64 v[4:5], 1, v[4:5]
	v_mov_b32_e32 v17, s25
	v_add_co_u32_e32 v4, vcc, s24, v4
	v_addc_co_u32_e32 v5, vcc, v17, v5, vcc
	global_load_ushort v4, v[4:5], off
	s_waitcnt vmcnt(0)
	v_lshlrev_b32_e32 v17, 16, v4
.LBB51_24:
	s_and_b64 vcc, exec, s[4:5]
	s_cbranch_vccnz .LBB51_26
; %bb.25:
	v_add_u32_e32 v4, 2, v2
	s_cbranch_execz .LBB51_27
	s_branch .LBB51_28
.LBB51_26:
                                        ; implicit-def: $vgpr4
.LBB51_27:
	v_add_u32_e32 v4, 2, v1
	v_mad_u64_u32 v[4:5], s[22:23], v4, s14, v[0:1]
.LBB51_28:
	s_and_b64 vcc, exec, s[6:7]
	s_cbranch_vccnz .LBB51_30
; %bb.29:
	v_add_u32_e32 v5, 2, v3
	s_cbranch_execz .LBB51_31
	s_branch .LBB51_32
.LBB51_30:
                                        ; implicit-def: $vgpr5
.LBB51_31:
	s_lshl_b32 s22, s15, 1
	v_add3_u32 v5, v15, s22, v0
.LBB51_32:
	v_mov_b32_e32 v19, 0
	s_and_b64 vcc, exec, s[8:9]
	v_mov_b32_e32 v18, 0
	s_cbranch_vccnz .LBB51_34
; %bb.33:
	v_add_u32_e32 v20, s21, v4
	v_mov_b32_e32 v21, 0
	v_lshlrev_b64 v[20:21], 1, v[20:21]
	v_mov_b32_e32 v4, s19
	v_add_co_u32_e32 v20, vcc, s18, v20
	v_addc_co_u32_e32 v21, vcc, v4, v21, vcc
	global_load_ushort v4, v[20:21], off
	s_waitcnt vmcnt(0)
	v_lshlrev_b32_e32 v18, 16, v4
.LBB51_34:
	s_and_b64 vcc, exec, s[10:11]
	s_cbranch_vccnz .LBB51_36
; %bb.35:
	v_add_u32_e32 v4, s21, v5
	v_mov_b32_e32 v5, 0
	v_lshlrev_b64 v[4:5], 1, v[4:5]
	v_mov_b32_e32 v19, s25
	v_add_co_u32_e32 v4, vcc, s24, v4
	v_addc_co_u32_e32 v5, vcc, v19, v5, vcc
	global_load_ushort v4, v[4:5], off
	s_waitcnt vmcnt(0)
	v_lshlrev_b32_e32 v19, 16, v4
.LBB51_36:
	s_and_b64 vcc, exec, s[4:5]
	s_cbranch_vccnz .LBB51_38
; %bb.37:
	v_add_u32_e32 v4, 3, v2
	s_cbranch_execz .LBB51_39
	s_branch .LBB51_40
.LBB51_38:
                                        ; implicit-def: $vgpr4
.LBB51_39:
	v_add_u32_e32 v1, 3, v1
	v_mad_u64_u32 v[4:5], s[4:5], v1, s14, v[0:1]
.LBB51_40:
	s_and_b64 vcc, exec, s[6:7]
	s_cbranch_vccnz .LBB51_42
; %bb.41:
	v_add_u32_e32 v1, 3, v3
	s_cbranch_execz .LBB51_43
	s_branch .LBB51_44
.LBB51_42:
                                        ; implicit-def: $vgpr1
.LBB51_43:
	s_mul_i32 s4, s15, 3
	v_add3_u32 v1, v15, s4, v0
.LBB51_44:
	v_mov_b32_e32 v3, 0
	s_and_b64 vcc, exec, s[8:9]
	v_mov_b32_e32 v2, 0
	s_cbranch_vccnz .LBB51_46
; %bb.45:
	v_add_u32_e32 v4, s21, v4
	v_mov_b32_e32 v5, 0
	v_lshlrev_b64 v[4:5], 1, v[4:5]
	v_mov_b32_e32 v2, s19
	v_add_co_u32_e32 v4, vcc, s18, v4
	v_addc_co_u32_e32 v5, vcc, v2, v5, vcc
	global_load_ushort v2, v[4:5], off
	s_waitcnt vmcnt(0)
	v_lshlrev_b32_e32 v2, 16, v2
.LBB51_46:
	s_and_b64 vcc, exec, s[10:11]
	s_cbranch_vccnz .LBB51_48
; %bb.47:
	v_add_u32_e32 v3, s21, v1
	v_mov_b32_e32 v4, 0
	v_lshlrev_b64 v[3:4], 1, v[3:4]
	v_mov_b32_e32 v1, s25
	v_add_co_u32_e32 v3, vcc, s24, v3
	v_addc_co_u32_e32 v4, vcc, v1, v4, vcc
	global_load_ushort v1, v[3:4], off
	s_waitcnt vmcnt(0)
	v_lshlrev_b32_e32 v3, 16, v1
.LBB51_48:
	s_waitcnt vmcnt(0)
	v_mul_f32_e32 v1, v12, v13
	v_fmac_f32_e32 v1, v11, v14
	s_mov_b32 s4, 0x7f800000
	v_and_b32_e32 v4, 0x7f800000, v1
	v_cmp_ne_u32_e32 vcc, s4, v4
                                        ; implicit-def: $vgpr4
	s_and_saveexec_b64 s[4:5], vcc
	s_xor_b64 s[4:5], exec, s[4:5]
; %bb.49:
	v_bfe_u32 v4, v1, 16, 1
	s_movk_i32 s6, 0x7fff
	v_add3_u32 v4, v1, v4, s6
                                        ; implicit-def: $vgpr1
; %bb.50:
	s_andn2_saveexec_b64 s[4:5], s[4:5]
; %bb.51:
	v_mov_b32_e32 v4, 0
	v_or_b32_e32 v5, 0x10000, v1
	v_cmp_eq_u32_sdwa vcc, v1, v4 src0_sel:WORD_0 src1_sel:DWORD
	v_cndmask_b32_e32 v4, v5, v1, vcc
; %bb.52:
	s_or_b64 exec, exec, s[4:5]
	s_load_dwordx2 s[4:5], s[26:27], 0x4
	v_mul_f32_e32 v5, v12, v17
	v_fmac_f32_e32 v5, v11, v16
	v_and_b32_e32 v14, 0x7f800000, v5
	v_lshrrev_b32_e32 v4, 16, v4
	s_waitcnt lgkmcnt(0)
	s_lshr_b32 s4, s4, 16
	s_mul_i32 s4, s4, s5
	v_mul_lo_u32 v1, s4, v42
	s_mov_b32 s4, 0x7f800000
	v_cmp_ne_u32_e32 vcc, s4, v14
                                        ; implicit-def: $vgpr14
	v_mad_u32_u24 v13, v43, s5, v1
	v_add_lshl_u32 v13, v13, v41, 3
	ds_write_b16 v13, v4
	s_and_saveexec_b64 s[6:7], vcc
	s_xor_b64 s[6:7], exec, s[6:7]
; %bb.53:
	v_bfe_u32 v14, v5, 16, 1
	s_movk_i32 s4, 0x7fff
	v_add3_u32 v14, v5, v14, s4
                                        ; implicit-def: $vgpr5
; %bb.54:
	s_andn2_saveexec_b64 s[6:7], s[6:7]
; %bb.55:
	v_mov_b32_e32 v14, 0
	v_or_b32_e32 v15, 0x10000, v5
	v_cmp_eq_u32_sdwa vcc, v5, v14 src0_sel:WORD_0 src1_sel:DWORD
	v_cndmask_b32_e32 v14, v15, v5, vcc
; %bb.56:
	s_or_b64 exec, exec, s[6:7]
	v_lshrrev_b32_e32 v5, 16, v14
	v_mul_f32_e32 v14, v12, v19
	v_fmac_f32_e32 v14, v11, v18
	s_mov_b32 s4, 0x7f800000
	v_and_b32_e32 v15, 0x7f800000, v14
	v_cmp_ne_u32_e32 vcc, s4, v15
	ds_write_b16 v13, v5 offset:2
                                        ; implicit-def: $vgpr15
	s_and_saveexec_b64 s[6:7], vcc
	s_xor_b64 s[6:7], exec, s[6:7]
; %bb.57:
	v_bfe_u32 v15, v14, 16, 1
	s_movk_i32 s4, 0x7fff
	v_add3_u32 v15, v14, v15, s4
                                        ; implicit-def: $vgpr14
; %bb.58:
	s_andn2_saveexec_b64 s[6:7], s[6:7]
; %bb.59:
	v_mov_b32_e32 v15, 0
	v_or_b32_e32 v16, 0x10000, v14
	v_cmp_eq_u32_sdwa vcc, v14, v15 src0_sel:WORD_0 src1_sel:DWORD
	v_cndmask_b32_e32 v15, v16, v14, vcc
; %bb.60:
	s_or_b64 exec, exec, s[6:7]
	v_mul_f32_e32 v3, v12, v3
	v_fmac_f32_e32 v3, v11, v2
	s_mov_b32 s4, 0x7f800000
	v_and_b32_e32 v2, 0x7f800000, v3
	v_lshrrev_b32_e32 v14, 16, v15
	v_cmp_ne_u32_e32 vcc, s4, v2
	ds_write_b16 v13, v14 offset:4
                                        ; implicit-def: $vgpr2
	s_and_saveexec_b64 s[6:7], vcc
	s_xor_b64 s[6:7], exec, s[6:7]
; %bb.61:
	v_bfe_u32 v2, v3, 16, 1
	s_movk_i32 s4, 0x7fff
	v_add3_u32 v2, v3, v2, s4
                                        ; implicit-def: $vgpr3
; %bb.62:
	s_andn2_saveexec_b64 s[6:7], s[6:7]
; %bb.63:
	v_mov_b32_e32 v2, 0
	v_or_b32_e32 v11, 0x10000, v3
	v_cmp_eq_u32_sdwa vcc, v3, v2 src0_sel:WORD_0 src1_sel:DWORD
	v_cndmask_b32_e32 v2, v11, v3, vcc
; %bb.64:
	s_or_b64 exec, exec, s[6:7]
	v_lshrrev_b32_e32 v2, 16, v2
	v_cmp_ge_u32_e32 vcc, s13, v10
	ds_write_b16 v13, v2 offset:6
	s_and_saveexec_b64 s[6:7], vcc
	s_xor_b64 s[6:7], exec, s[6:7]
	s_cbranch_execz .LBB51_66
; %bb.65:
	v_mul_lo_u32 v0, v0, s20
	v_mov_b32_e32 v1, 0
	v_mov_b32_e32 v3, s17
                                        ; implicit-def: $vgpr8
                                        ; implicit-def: $vgpr10
                                        ; implicit-def: $vgpr42
                                        ; implicit-def: $vgpr43
                                        ; implicit-def: $vgpr41
	v_add3_u32 v0, v7, s21, v0
	v_sub_u32_e32 v0, v0, v9
	v_lshlrev_b64 v[6:7], 1, v[0:1]
                                        ; implicit-def: $vgpr9
	v_add_co_u32_e32 v6, vcc, s16, v6
	v_addc_co_u32_e32 v7, vcc, v3, v7, vcc
	global_store_short v[6:7], v4, off
	v_add_u32_e32 v3, 1, v0
	v_mov_b32_e32 v4, v1
	v_lshlrev_b64 v[3:4], 1, v[3:4]
	v_mov_b32_e32 v6, s17
	v_add_co_u32_e32 v3, vcc, s16, v3
	v_addc_co_u32_e32 v4, vcc, v6, v4, vcc
	global_store_short v[3:4], v5, off
	v_add_u32_e32 v3, 2, v0
	v_mov_b32_e32 v4, v1
	v_lshlrev_b64 v[3:4], 1, v[3:4]
	v_add_u32_e32 v0, 3, v0
	v_mov_b32_e32 v5, s17
	v_add_co_u32_e32 v3, vcc, s16, v3
	v_lshlrev_b64 v[0:1], 1, v[0:1]
	v_addc_co_u32_e32 v4, vcc, v5, v4, vcc
	global_store_short v[3:4], v14, off
	v_mov_b32_e32 v3, s17
	v_add_co_u32_e32 v0, vcc, s16, v0
	v_addc_co_u32_e32 v1, vcc, v3, v1, vcc
	global_store_short v[0:1], v2, off
                                        ; implicit-def: $vgpr6
                                        ; implicit-def: $vgpr7
                                        ; implicit-def: $vgpr1
.LBB51_66:
	s_andn2_saveexec_b64 s[6:7], s[6:7]
	s_cbranch_execz .LBB51_70
; %bb.67:
	v_cmp_gt_u32_e32 vcc, 4, v9
	s_and_b64 exec, exec, vcc
	s_cbranch_execz .LBB51_70
; %bb.68:
	v_lshl_or_b32 v0, s34, 4, v6
	s_lshl_b32 s4, s31, 4
	v_mul_u32_u24_e32 v3, s5, v43
	v_subrev_u32_e32 v0, s4, v0
	v_lshrrev_b32_e32 v5, 4, v42
	v_mul_lo_u32 v0, s20, v0
	v_add3_u32 v3, v3, v41, v5
	v_min_u32_e32 v4, s13, v10
	v_add_lshl_u32 v1, v3, v1, 3
	v_lshl_add_u32 v1, s30, 7, v1
	v_lshlrev_b32_e32 v3, 1, v4
	v_sub_u32_e32 v2, v7, v4
	s_add_i32 s12, s12, s21
	v_sub_u32_e32 v1, v1, v3
	v_add_u32_e32 v2, 3, v2
	v_add3_u32 v0, s12, v0, v8
	v_add_u32_e32 v3, 8, v1
	s_mov_b64 s[6:7], 0
	v_mov_b32_e32 v1, 0
	v_mov_b32_e32 v4, s17
.LBB51_69:                              ; =>This Inner Loop Header: Depth=1
	ds_read_u16 v7, v3
	v_lshlrev_b64 v[5:6], 1, v[0:1]
	v_add_u32_e32 v2, 1, v2
	v_cmp_lt_u32_e32 vcc, 2, v2
	v_add_co_u32_e64 v5, s[4:5], s16, v5
	v_add_u32_e32 v0, 1, v0
	v_add_u32_e32 v3, 2, v3
	v_addc_co_u32_e64 v6, s[4:5], v4, v6, s[4:5]
	s_or_b64 s[6:7], vcc, s[6:7]
	s_waitcnt lgkmcnt(0)
	global_store_short v[5:6], v7, off
	s_andn2_b64 exec, exec, s[6:7]
	s_cbranch_execnz .LBB51_69
.LBB51_70:
	s_endpgm
	.section	.rodata,"a",@progbits
	.p2align	6, 0x0
	.amdhsa_kernel Transform_BF16_S_111_16_16_VW_4
		.amdhsa_group_segment_fixed_size 8192
		.amdhsa_private_segment_fixed_size 64
		.amdhsa_kernarg_size 344
		.amdhsa_user_sgpr_count 10
		.amdhsa_user_sgpr_private_segment_buffer 1
		.amdhsa_user_sgpr_dispatch_ptr 1
		.amdhsa_user_sgpr_queue_ptr 0
		.amdhsa_user_sgpr_kernarg_segment_ptr 1
		.amdhsa_user_sgpr_dispatch_id 0
		.amdhsa_user_sgpr_flat_scratch_init 1
		.amdhsa_user_sgpr_private_segment_size 0
		.amdhsa_uses_dynamic_stack 0
		.amdhsa_system_sgpr_private_segment_wavefront_offset 1
		.amdhsa_system_sgpr_workgroup_id_x 1
		.amdhsa_system_sgpr_workgroup_id_y 0
		.amdhsa_system_sgpr_workgroup_id_z 1
		.amdhsa_system_sgpr_workgroup_info 0
		.amdhsa_system_vgpr_workitem_id 2
		.amdhsa_next_free_vgpr 44
		.amdhsa_next_free_sgpr 36
		.amdhsa_reserve_vcc 1
		.amdhsa_reserve_flat_scratch 1
		.amdhsa_float_round_mode_32 0
		.amdhsa_float_round_mode_16_64 0
		.amdhsa_float_denorm_mode_32 3
		.amdhsa_float_denorm_mode_16_64 3
		.amdhsa_dx10_clamp 1
		.amdhsa_ieee_mode 1
		.amdhsa_fp16_overflow 0
		.amdhsa_exception_fp_ieee_invalid_op 0
		.amdhsa_exception_fp_denorm_src 0
		.amdhsa_exception_fp_ieee_div_zero 0
		.amdhsa_exception_fp_ieee_overflow 0
		.amdhsa_exception_fp_ieee_underflow 0
		.amdhsa_exception_fp_ieee_inexact 0
		.amdhsa_exception_int_div_zero 0
	.end_amdhsa_kernel
	.text
.Lfunc_end51:
	.size	Transform_BF16_S_111_16_16_VW_4, .Lfunc_end51-Transform_BF16_S_111_16_16_VW_4
                                        ; -- End function
	.set Transform_BF16_S_111_16_16_VW_4.num_vgpr, max(44, .L__assert_fail.num_vgpr)
	.set Transform_BF16_S_111_16_16_VW_4.num_agpr, max(0, .L__assert_fail.num_agpr)
	.set Transform_BF16_S_111_16_16_VW_4.numbered_sgpr, max(36, .L__assert_fail.numbered_sgpr)
	.set Transform_BF16_S_111_16_16_VW_4.num_named_barrier, max(0, .L__assert_fail.num_named_barrier)
	.set Transform_BF16_S_111_16_16_VW_4.private_seg_size, 0+max(.L__assert_fail.private_seg_size)
	.set Transform_BF16_S_111_16_16_VW_4.uses_vcc, or(1, .L__assert_fail.uses_vcc)
	.set Transform_BF16_S_111_16_16_VW_4.uses_flat_scratch, or(1, .L__assert_fail.uses_flat_scratch)
	.set Transform_BF16_S_111_16_16_VW_4.has_dyn_sized_stack, or(0, .L__assert_fail.has_dyn_sized_stack)
	.set Transform_BF16_S_111_16_16_VW_4.has_recursion, or(0, .L__assert_fail.has_recursion)
	.set Transform_BF16_S_111_16_16_VW_4.has_indirect_call, or(0, .L__assert_fail.has_indirect_call)
	.section	.AMDGPU.csdata,"",@progbits
; Kernel info:
; codeLenInByte = 2100
; TotalNumSgprs: 42
; NumVgprs: 44
; ScratchSize: 64
; MemoryBound: 0
; FloatMode: 240
; IeeeMode: 1
; LDSByteSize: 8192 bytes/workgroup (compile time only)
; SGPRBlocks: 5
; VGPRBlocks: 10
; NumSGPRsForWavesPerEU: 42
; NumVGPRsForWavesPerEU: 44
; Occupancy: 5
; WaveLimiterHint : 1
; COMPUTE_PGM_RSRC2:SCRATCH_EN: 1
; COMPUTE_PGM_RSRC2:USER_SGPR: 10
; COMPUTE_PGM_RSRC2:TRAP_HANDLER: 0
; COMPUTE_PGM_RSRC2:TGID_X_EN: 1
; COMPUTE_PGM_RSRC2:TGID_Y_EN: 0
; COMPUTE_PGM_RSRC2:TGID_Z_EN: 1
; COMPUTE_PGM_RSRC2:TIDIG_COMP_CNT: 2
	.text
	.protected	Transform_BF16_S_110_16_16_VW_1 ; -- Begin function Transform_BF16_S_110_16_16_VW_1
	.globl	Transform_BF16_S_110_16_16_VW_1
	.p2align	8
	.type	Transform_BF16_S_110_16_16_VW_1,@function
Transform_BF16_S_110_16_16_VW_1:        ; @Transform_BF16_S_110_16_16_VW_1
; %bb.0:
	s_mov_b64 s[26:27], s[4:5]
	s_load_dword s4, s[4:5], 0x64
	s_add_u32 flat_scratch_lo, s6, s10
	s_addc_u32 flat_scratch_hi, s7, 0
	s_add_u32 s0, s0, s10
	s_addc_u32 s1, s1, 0
	s_waitcnt lgkmcnt(0)
	s_and_b32 s4, s4, 0xffff
	s_mov_b32 s28, s9
	s_mov_b32 s29, s8
	v_mov_b32_e32 v41, v0
	s_cmpk_eq_i32 s4, 0x100
	s_mov_b64 s[4:5], -1
	s_mov_b32 s32, 0
	s_cbranch_scc1 .LBB52_2
; %bb.1:
	s_add_u32 s8, s26, 0x58
	s_addc_u32 s9, s27, 0
	s_getpc_b64 s[4:5]
	s_add_u32 s4, s4, __PRETTY_FUNCTION__._ZN10amd_detail9transformI12hip_bfloat16fLb1ELb1ELb0ELj16ELj16ELj1EEEvPT_PKS2_S5_T0_PKS6_S6_S8_jjjjjjbb@rel32@lo+4
	s_addc_u32 s5, s5, __PRETTY_FUNCTION__._ZN10amd_detail9transformI12hip_bfloat16fLb1ELb1ELb0ELj16ELj16ELj1EEEvPT_PKS2_S5_T0_PKS6_S6_S8_jjjjjjbb@rel32@hi+12
	s_getpc_b64 s[6:7]
	s_add_u32 s6, s6, __assert_fail@rel32@lo+4
	s_addc_u32 s7, s7, __assert_fail@rel32@hi+12
	v_mov_b32_e32 v0, s4
	v_mov_b32_e32 v1, s5
	s_swappc_b64 s[30:31], s[6:7]
	s_mov_b64 s[4:5], 0
	; divergent unreachable
.LBB52_2:
	s_andn2_b64 vcc, exec, s[4:5]
	s_cbranch_vccnz .LBB52_17
; %bb.3:
	s_load_dwordx8 s[4:11], s[26:27], 0x38
	s_waitcnt lgkmcnt(0)
	s_lshr_b32 s11, s4, 4
	s_and_b32 s12, s4, 15
	s_cmp_lg_u32 s12, 0
	s_cselect_b64 s[12:13], -1, 0
	s_cmp_lg_u64 s[12:13], 0
	s_addc_u32 s11, s11, 0
	v_cvt_f32_u32_e32 v0, s11
	s_load_dword s15, s[26:27], 0x18
	s_load_dwordx2 s[12:13], s[26:27], 0x20
	s_sub_i32 s14, 0, s11
	v_rcp_iflag_f32_e32 v0, v0
	s_waitcnt lgkmcnt(0)
	v_mov_b32_e32 v1, s15
	v_mul_f32_e32 v0, 0x4f7ffffe, v0
	v_cvt_u32_f32_e32 v0, v0
	v_readfirstlane_b32 s16, v0
	s_mul_i32 s14, s14, s16
	s_mul_hi_u32 s14, s16, s14
	s_add_i32 s16, s16, s14
	s_mul_hi_u32 s14, s29, s16
	s_cmp_eq_u64 s[12:13], 0
	s_cbranch_scc1 .LBB52_5
; %bb.4:
	v_mov_b32_e32 v0, 0
	global_load_dword v1, v0, s[12:13]
.LBB52_5:
	s_load_dwordx2 s[12:13], s[26:27], 0x30
	s_load_dword s15, s[26:27], 0x28
	s_waitcnt lgkmcnt(0)
	s_cmp_eq_u64 s[12:13], 0
	v_mov_b32_e32 v3, s15
	s_cbranch_scc1 .LBB52_7
; %bb.6:
	v_mov_b32_e32 v0, 0
	global_load_dword v3, v0, s[12:13]
.LBB52_7:
	s_mul_i32 s12, s14, s11
	s_sub_i32 s12, s29, s12
	s_add_i32 s13, s14, 1
	s_sub_i32 s15, s12, s11
	s_cmp_ge_u32 s12, s11
	s_cselect_b32 s13, s13, s14
	s_cselect_b32 s12, s15, s12
	s_add_i32 s14, s13, 1
	s_cmp_ge_u32 s12, s11
	s_cselect_b32 s12, s14, s13
	s_mul_i32 s11, s12, s11
	s_sub_i32 s11, s29, s11
	v_and_b32_e32 v0, 15, v41
	v_lshrrev_b32_e32 v2, 4, v41
	v_lshl_or_b32 v0, s11, 4, v0
	v_lshl_add_u32 v2, s12, 4, v2
	v_cmp_gt_u32_e32 vcc, s4, v0
	v_cmp_gt_u32_e64 s[4:5], s5, v2
	s_and_b64 s[4:5], vcc, s[4:5]
	s_and_saveexec_b64 s[12:13], s[4:5]
	s_cbranch_execz .LBB52_17
; %bb.8:
	s_load_dwordx4 s[12:15], s[26:27], 0x0
	s_load_dwordx2 s[4:5], s[26:27], 0x10
	s_mul_i32 s9, s9, s28
	v_mov_b32_e32 v5, 0
	v_mov_b32_e32 v4, 0
	s_waitcnt lgkmcnt(0)
	s_cmp_eq_u64 s[14:15], 0
	s_cbranch_scc1 .LBB52_10
; %bb.9:
	s_bitcmp1_b32 s10, 0
	s_cselect_b64 vcc, -1, 0
	v_cndmask_b32_e32 v4, v0, v2, vcc
	v_mul_lo_u32 v4, v4, s6
	v_cndmask_b32_e32 v6, v2, v0, vcc
	v_mov_b32_e32 v7, 0
	v_add3_u32 v6, v6, s9, v4
	v_lshlrev_b64 v[6:7], 1, v[6:7]
	v_mov_b32_e32 v4, s15
	v_add_co_u32_e32 v6, vcc, s14, v6
	v_addc_co_u32_e32 v7, vcc, v4, v7, vcc
	global_load_ushort v4, v[6:7], off
	s_waitcnt vmcnt(0)
	v_lshlrev_b32_e32 v4, 16, v4
.LBB52_10:
	s_cmp_eq_u64 s[4:5], 0
	s_cbranch_scc1 .LBB52_12
; %bb.11:
	s_load_dword s6, s[26:27], 0x50
	v_mov_b32_e32 v6, 0
	v_mov_b32_e32 v7, s5
	s_waitcnt lgkmcnt(0)
	s_bitcmp1_b32 s6, 8
	s_cselect_b64 vcc, -1, 0
	v_cndmask_b32_e32 v5, v0, v2, vcc
	v_mul_lo_u32 v5, v5, s7
	v_cndmask_b32_e32 v8, v2, v0, vcc
	v_add3_u32 v5, v8, s9, v5
	v_lshlrev_b64 v[5:6], 1, v[5:6]
	v_add_co_u32_e32 v5, vcc, s4, v5
	v_addc_co_u32_e32 v6, vcc, v7, v6, vcc
	global_load_ushort v5, v[5:6], off
	s_waitcnt vmcnt(0)
	v_lshlrev_b32_e32 v5, 16, v5
.LBB52_12:
	s_waitcnt vmcnt(0)
	v_mul_f32_e32 v3, v3, v5
	v_fmac_f32_e32 v3, v1, v4
	s_mov_b32 s4, 0x7f800000
	v_and_b32_e32 v1, 0x7f800000, v3
	v_cmp_ne_u32_e32 vcc, s4, v1
                                        ; implicit-def: $vgpr1
	s_and_saveexec_b64 s[4:5], vcc
	s_xor_b64 s[4:5], exec, s[4:5]
; %bb.13:
	v_bfe_u32 v1, v3, 16, 1
	s_movk_i32 s6, 0x7fff
	v_add3_u32 v1, v3, v1, s6
                                        ; implicit-def: $vgpr3
; %bb.14:
	s_andn2_saveexec_b64 s[4:5], s[4:5]
; %bb.15:
	v_mov_b32_e32 v1, 0
	v_or_b32_e32 v4, 0x10000, v3
	v_cmp_eq_u32_sdwa vcc, v3, v1 src0_sel:WORD_0 src1_sel:DWORD
	v_cndmask_b32_e32 v1, v4, v3, vcc
; %bb.16:
	s_or_b64 exec, exec, s[4:5]
	v_mul_lo_u32 v2, v2, s8
	v_mov_b32_e32 v3, 0
	v_mov_b32_e32 v4, s13
	v_add3_u32 v2, v0, s9, v2
	v_lshlrev_b64 v[2:3], 1, v[2:3]
	v_add_co_u32_e32 v2, vcc, s12, v2
	v_addc_co_u32_e32 v3, vcc, v4, v3, vcc
	global_store_short_d16_hi v[2:3], v1, off
.LBB52_17:
	s_endpgm
	.section	.rodata,"a",@progbits
	.p2align	6, 0x0
	.amdhsa_kernel Transform_BF16_S_110_16_16_VW_1
		.amdhsa_group_segment_fixed_size 0
		.amdhsa_private_segment_fixed_size 64
		.amdhsa_kernarg_size 344
		.amdhsa_user_sgpr_count 8
		.amdhsa_user_sgpr_private_segment_buffer 1
		.amdhsa_user_sgpr_dispatch_ptr 0
		.amdhsa_user_sgpr_queue_ptr 0
		.amdhsa_user_sgpr_kernarg_segment_ptr 1
		.amdhsa_user_sgpr_dispatch_id 0
		.amdhsa_user_sgpr_flat_scratch_init 1
		.amdhsa_user_sgpr_private_segment_size 0
		.amdhsa_uses_dynamic_stack 0
		.amdhsa_system_sgpr_private_segment_wavefront_offset 1
		.amdhsa_system_sgpr_workgroup_id_x 1
		.amdhsa_system_sgpr_workgroup_id_y 0
		.amdhsa_system_sgpr_workgroup_id_z 1
		.amdhsa_system_sgpr_workgroup_info 0
		.amdhsa_system_vgpr_workitem_id 0
		.amdhsa_next_free_vgpr 42
		.amdhsa_next_free_sgpr 34
		.amdhsa_reserve_vcc 1
		.amdhsa_reserve_flat_scratch 1
		.amdhsa_float_round_mode_32 0
		.amdhsa_float_round_mode_16_64 0
		.amdhsa_float_denorm_mode_32 3
		.amdhsa_float_denorm_mode_16_64 3
		.amdhsa_dx10_clamp 1
		.amdhsa_ieee_mode 1
		.amdhsa_fp16_overflow 0
		.amdhsa_exception_fp_ieee_invalid_op 0
		.amdhsa_exception_fp_denorm_src 0
		.amdhsa_exception_fp_ieee_div_zero 0
		.amdhsa_exception_fp_ieee_overflow 0
		.amdhsa_exception_fp_ieee_underflow 0
		.amdhsa_exception_fp_ieee_inexact 0
		.amdhsa_exception_int_div_zero 0
	.end_amdhsa_kernel
	.text
.Lfunc_end52:
	.size	Transform_BF16_S_110_16_16_VW_1, .Lfunc_end52-Transform_BF16_S_110_16_16_VW_1
                                        ; -- End function
	.set Transform_BF16_S_110_16_16_VW_1.num_vgpr, max(42, .L__assert_fail.num_vgpr)
	.set Transform_BF16_S_110_16_16_VW_1.num_agpr, max(0, .L__assert_fail.num_agpr)
	.set Transform_BF16_S_110_16_16_VW_1.numbered_sgpr, max(33, .L__assert_fail.numbered_sgpr)
	.set Transform_BF16_S_110_16_16_VW_1.num_named_barrier, max(0, .L__assert_fail.num_named_barrier)
	.set Transform_BF16_S_110_16_16_VW_1.private_seg_size, 0+max(.L__assert_fail.private_seg_size)
	.set Transform_BF16_S_110_16_16_VW_1.uses_vcc, or(1, .L__assert_fail.uses_vcc)
	.set Transform_BF16_S_110_16_16_VW_1.uses_flat_scratch, or(1, .L__assert_fail.uses_flat_scratch)
	.set Transform_BF16_S_110_16_16_VW_1.has_dyn_sized_stack, or(0, .L__assert_fail.has_dyn_sized_stack)
	.set Transform_BF16_S_110_16_16_VW_1.has_recursion, or(0, .L__assert_fail.has_recursion)
	.set Transform_BF16_S_110_16_16_VW_1.has_indirect_call, or(0, .L__assert_fail.has_indirect_call)
	.section	.AMDGPU.csdata,"",@progbits
; Kernel info:
; codeLenInByte = 756
; TotalNumSgprs: 40
; NumVgprs: 42
; ScratchSize: 64
; MemoryBound: 0
; FloatMode: 240
; IeeeMode: 1
; LDSByteSize: 0 bytes/workgroup (compile time only)
; SGPRBlocks: 4
; VGPRBlocks: 10
; NumSGPRsForWavesPerEU: 40
; NumVGPRsForWavesPerEU: 42
; Occupancy: 5
; WaveLimiterHint : 1
; COMPUTE_PGM_RSRC2:SCRATCH_EN: 1
; COMPUTE_PGM_RSRC2:USER_SGPR: 8
; COMPUTE_PGM_RSRC2:TRAP_HANDLER: 0
; COMPUTE_PGM_RSRC2:TGID_X_EN: 1
; COMPUTE_PGM_RSRC2:TGID_Y_EN: 0
; COMPUTE_PGM_RSRC2:TGID_Z_EN: 1
; COMPUTE_PGM_RSRC2:TIDIG_COMP_CNT: 0
	.text
	.protected	Transform_BF16_S_110_16_16_VW_4 ; -- Begin function Transform_BF16_S_110_16_16_VW_4
	.globl	Transform_BF16_S_110_16_16_VW_4
	.p2align	8
	.type	Transform_BF16_S_110_16_16_VW_4,@function
Transform_BF16_S_110_16_16_VW_4:        ; @Transform_BF16_S_110_16_16_VW_4
; %bb.0:
	s_mov_b64 s[26:27], s[4:5]
	s_load_dword s4, s[6:7], 0x64
	s_add_u32 flat_scratch_lo, s8, s12
	s_addc_u32 flat_scratch_hi, s9, 0
	s_add_u32 s0, s0, s12
	s_addc_u32 s1, s1, 0
	s_waitcnt lgkmcnt(0)
	s_and_b32 s4, s4, 0xffff
	s_mov_b32 s35, s11
	s_mov_b32 s34, s10
	s_mov_b64 s[28:29], s[6:7]
	v_mov_b32_e32 v41, v2
	v_mov_b32_e32 v43, v1
	;; [unrolled: 1-line block ×3, first 2 shown]
	s_cmpk_eq_i32 s4, 0x100
	s_mov_b64 s[4:5], -1
	s_mov_b32 s32, 0
	s_cbranch_scc1 .LBB53_2
; %bb.1:
	s_add_u32 s8, s28, 0x58
	s_addc_u32 s9, s29, 0
	s_getpc_b64 s[4:5]
	s_add_u32 s4, s4, __PRETTY_FUNCTION__._ZN10amd_detail9transformI12hip_bfloat16fLb1ELb1ELb0ELj16ELj16ELj4EEEvPT_PKS2_S5_T0_PKS6_S6_S8_jjjjjjbb@rel32@lo+4
	s_addc_u32 s5, s5, __PRETTY_FUNCTION__._ZN10amd_detail9transformI12hip_bfloat16fLb1ELb1ELb0ELj16ELj16ELj4EEEvPT_PKS2_S5_T0_PKS6_S6_S8_jjjjjjbb@rel32@hi+12
	s_getpc_b64 s[6:7]
	s_add_u32 s6, s6, __assert_fail@rel32@lo+4
	s_addc_u32 s7, s7, __assert_fail@rel32@hi+12
	v_mov_b32_e32 v0, s4
	v_mov_b32_e32 v1, s5
	s_swappc_b64 s[30:31], s[6:7]
	s_mov_b64 s[4:5], 0
	; divergent unreachable
.LBB53_2:
	s_andn2_b64 vcc, exec, s[4:5]
	s_cbranch_vccnz .LBB53_70
; %bb.3:
	s_load_dwordx8 s[12:19], s[28:29], 0x38
	s_waitcnt lgkmcnt(0)
	s_lshr_b32 s6, s12, 6
	s_and_b32 s4, s12, 63
	s_cmp_lg_u32 s4, 0
	s_cselect_b64 s[4:5], -1, 0
	s_cmp_lg_u64 s[4:5], 0
	s_addc_u32 s6, s6, 0
	v_cvt_f32_u32_e32 v0, s6
	s_load_dword s8, s[28:29], 0x18
	s_load_dwordx2 s[4:5], s[28:29], 0x20
	s_sub_i32 s7, 0, s6
	v_rcp_iflag_f32_e32 v0, v0
	s_waitcnt lgkmcnt(0)
	v_mov_b32_e32 v11, s8
	v_mul_f32_e32 v0, 0x4f7ffffe, v0
	v_cvt_u32_f32_e32 v0, v0
	v_readfirstlane_b32 s9, v0
	s_mul_i32 s7, s7, s9
	s_mul_hi_u32 s7, s9, s7
	s_add_i32 s9, s9, s7
	s_mul_hi_u32 s7, s34, s9
	s_cmp_eq_u64 s[4:5], 0
	s_cbranch_scc1 .LBB53_5
; %bb.4:
	v_mov_b32_e32 v0, 0
	global_load_dword v11, v0, s[4:5]
.LBB53_5:
	s_load_dwordx2 s[4:5], s[28:29], 0x30
	s_load_dword s8, s[28:29], 0x28
	s_waitcnt lgkmcnt(0)
	s_cmp_eq_u64 s[4:5], 0
	v_mov_b32_e32 v13, s8
	s_cbranch_scc1 .LBB53_7
; %bb.6:
	v_mov_b32_e32 v0, 0
	global_load_dword v13, v0, s[4:5]
.LBB53_7:
	s_mul_i32 s4, s7, s6
	s_sub_i32 s4, s34, s4
	s_add_i32 s5, s7, 1
	s_sub_i32 s8, s4, s6
	s_cmp_ge_u32 s4, s6
	s_cselect_b32 s5, s5, s7
	s_cselect_b32 s4, s8, s4
	s_add_i32 s7, s5, 1
	s_cmp_ge_u32 s4, s6
	s_cselect_b32 s4, s7, s5
	v_lshrrev_b32_e32 v0, 4, v42
	v_lshl_add_u32 v0, s4, 4, v0
	v_cmp_gt_u32_e32 vcc, s13, v0
	s_and_saveexec_b64 s[8:9], vcc
	s_cbranch_execz .LBB53_70
; %bb.8:
	s_mul_i32 s13, s4, s6
	v_lshlrev_b32_e32 v1, 2, v42
	s_sub_i32 s4, s34, s13
	v_and_b32_e32 v8, 60, v1
	v_lshl_or_b32 v10, s4, 6, v8
	v_add_u32_e32 v12, 4, v10
	s_load_dwordx4 s[20:23], s[28:29], 0x0
	s_load_dwordx2 s[24:25], s[28:29], 0x10
	v_sub_u32_e64 v9, v12, s12 clamp
	v_sub_u32_e32 v4, v10, v9
	v_mad_u64_u32 v[1:2], s[4:5], v0, s14, v[4:5]
	s_bitcmp1_b32 s18, 0
	s_cselect_b64 vcc, -1, 0
	s_waitcnt lgkmcnt(0)
	s_cmp_lg_u64 s[22:23], 0
	s_mul_i32 s17, s17, s35
	s_cselect_b64 s[10:11], -1, 0
	s_cmp_eq_u64 s[22:23], 0
	v_mov_b32_e32 v15, 0
	v_mov_b32_e32 v14, 0
	s_cbranch_scc1 .LBB53_10
; %bb.9:
	v_mad_u64_u32 v[2:3], s[4:5], v4, s14, v[0:1]
	v_mov_b32_e32 v3, 0
	v_mov_b32_e32 v5, s23
	v_cndmask_b32_e32 v2, v2, v1, vcc
	v_add_u32_e32 v2, s17, v2
	v_lshlrev_b64 v[2:3], 1, v[2:3]
	v_add_co_u32_e64 v2, s[4:5], s22, v2
	v_addc_co_u32_e64 v3, s[4:5], v5, v3, s[4:5]
	global_load_ushort v2, v[2:3], off
	s_waitcnt vmcnt(0)
	v_lshlrev_b32_e32 v14, 16, v2
.LBB53_10:
	s_load_dword s6, s[28:29], 0x50
	s_xor_b64 s[8:9], vcc, -1
	v_mad_u64_u32 v[2:3], s[4:5], v0, s15, v[4:5]
	s_waitcnt lgkmcnt(0)
	s_bitcmp1_b32 s6, 8
	s_cselect_b64 s[6:7], -1, 0
	s_cmp_lg_u64 s[24:25], 0
	s_cselect_b64 s[18:19], -1, 0
	s_cmp_eq_u64 s[24:25], 0
	s_cbranch_scc1 .LBB53_12
; %bb.11:
	v_mad_u64_u32 v[5:6], s[4:5], v4, s15, v[0:1]
	v_mov_b32_e32 v6, 0
	v_mov_b32_e32 v3, s25
	v_cndmask_b32_e64 v5, v5, v2, s[6:7]
	v_add_u32_e32 v5, s17, v5
	v_lshlrev_b64 v[5:6], 1, v[5:6]
	v_add_co_u32_e32 v5, vcc, s24, v5
	v_addc_co_u32_e32 v6, vcc, v3, v6, vcc
	global_load_ushort v3, v[5:6], off
	s_waitcnt vmcnt(0)
	v_lshlrev_b32_e32 v15, 16, v3
.LBB53_12:
	v_cndmask_b32_e64 v3, 0, 1, s[8:9]
	v_cmp_ne_u32_e64 s[4:5], 1, v3
	s_andn2_b64 vcc, exec, s[8:9]
	s_cbranch_vccnz .LBB53_14
; %bb.13:
	v_mul_lo_u32 v3, s14, v4
	v_add3_u32 v3, v3, s14, v0
	s_xor_b64 s[8:9], s[6:7], -1
	s_cbranch_execz .LBB53_15
	s_branch .LBB53_16
.LBB53_14:
                                        ; implicit-def: $vgpr3
	s_xor_b64 s[8:9], s[6:7], -1
.LBB53_15:
	v_add_u32_e32 v3, 1, v1
.LBB53_16:
	v_cndmask_b32_e64 v5, 0, 1, s[8:9]
	v_cmp_ne_u32_e64 s[6:7], 1, v5
	s_andn2_b64 vcc, exec, s[8:9]
	s_cbranch_vccnz .LBB53_18
; %bb.17:
	v_mul_lo_u32 v5, s15, v4
	v_add3_u32 v5, v5, s15, v0
	s_cbranch_execz .LBB53_19
	s_branch .LBB53_20
.LBB53_18:
                                        ; implicit-def: $vgpr5
.LBB53_19:
	v_add_u32_e32 v5, 1, v2
.LBB53_20:
	v_cndmask_b32_e64 v6, 0, 1, s[10:11]
	v_mov_b32_e32 v17, 0
	v_cmp_ne_u32_e64 s[8:9], 1, v6
	s_andn2_b64 vcc, exec, s[10:11]
	v_mov_b32_e32 v16, 0
	s_cbranch_vccnz .LBB53_22
; %bb.21:
	v_add_u32_e32 v6, s17, v3
	v_mov_b32_e32 v7, 0
	v_lshlrev_b64 v[6:7], 1, v[6:7]
	v_mov_b32_e32 v3, s23
	v_add_co_u32_e32 v6, vcc, s22, v6
	v_addc_co_u32_e32 v7, vcc, v3, v7, vcc
	global_load_ushort v3, v[6:7], off
	s_waitcnt vmcnt(0)
	v_lshlrev_b32_e32 v16, 16, v3
.LBB53_22:
	v_cndmask_b32_e64 v3, 0, 1, s[18:19]
	v_cmp_ne_u32_e64 s[10:11], 1, v3
	s_andn2_b64 vcc, exec, s[18:19]
	s_cbranch_vccnz .LBB53_24
; %bb.23:
	v_add_u32_e32 v5, s17, v5
	v_mov_b32_e32 v6, 0
	v_lshlrev_b64 v[5:6], 1, v[5:6]
	v_mov_b32_e32 v3, s25
	v_add_co_u32_e32 v5, vcc, s24, v5
	v_addc_co_u32_e32 v6, vcc, v3, v6, vcc
	global_load_ushort v3, v[5:6], off
	s_waitcnt vmcnt(0)
	v_lshlrev_b32_e32 v17, 16, v3
.LBB53_24:
	s_and_b64 vcc, exec, s[4:5]
	v_add_u32_e32 v3, 2, v4
	s_cbranch_vccnz .LBB53_26
; %bb.25:
	v_mad_u64_u32 v[5:6], s[18:19], v3, s14, v[0:1]
	s_cbranch_execz .LBB53_27
	s_branch .LBB53_28
.LBB53_26:
                                        ; implicit-def: $vgpr5
.LBB53_27:
	v_add_u32_e32 v5, 2, v1
.LBB53_28:
	s_and_b64 vcc, exec, s[6:7]
	s_cbranch_vccnz .LBB53_30
; %bb.29:
	v_mad_u64_u32 v[6:7], s[18:19], v3, s15, v[0:1]
	s_cbranch_execz .LBB53_31
	s_branch .LBB53_32
.LBB53_30:
                                        ; implicit-def: $vgpr6
.LBB53_31:
	v_add_u32_e32 v6, 2, v2
.LBB53_32:
	v_mov_b32_e32 v18, 0
	s_and_b64 vcc, exec, s[8:9]
	v_mov_b32_e32 v7, 0
	s_cbranch_vccnz .LBB53_34
; %bb.33:
	v_add_u32_e32 v19, s17, v5
	v_mov_b32_e32 v20, 0
	v_lshlrev_b64 v[19:20], 1, v[19:20]
	v_mov_b32_e32 v3, s23
	v_add_co_u32_e32 v19, vcc, s22, v19
	v_addc_co_u32_e32 v20, vcc, v3, v20, vcc
	global_load_ushort v3, v[19:20], off
	s_waitcnt vmcnt(0)
	v_lshlrev_b32_e32 v7, 16, v3
.LBB53_34:
	s_and_b64 vcc, exec, s[10:11]
	s_cbranch_vccnz .LBB53_36
; %bb.35:
	v_add_u32_e32 v5, s17, v6
	v_mov_b32_e32 v6, 0
	v_lshlrev_b64 v[5:6], 1, v[5:6]
	v_mov_b32_e32 v3, s25
	v_add_co_u32_e32 v5, vcc, s24, v5
	v_addc_co_u32_e32 v6, vcc, v3, v6, vcc
	global_load_ushort v3, v[5:6], off
	s_waitcnt vmcnt(0)
	v_lshlrev_b32_e32 v18, 16, v3
.LBB53_36:
	s_and_b64 vcc, exec, s[4:5]
	v_add_u32_e32 v5, 3, v4
	s_cbranch_vccnz .LBB53_38
; %bb.37:
	v_mad_u64_u32 v[3:4], s[4:5], v5, s14, v[0:1]
	s_cbranch_execz .LBB53_39
	s_branch .LBB53_40
.LBB53_38:
                                        ; implicit-def: $vgpr3
.LBB53_39:
	v_add_u32_e32 v3, 3, v1
.LBB53_40:
	s_and_b64 vcc, exec, s[6:7]
	s_cbranch_vccnz .LBB53_42
; %bb.41:
	v_mad_u64_u32 v[4:5], s[4:5], v5, s15, v[0:1]
	s_cbranch_execz .LBB53_43
	s_branch .LBB53_44
.LBB53_42:
                                        ; implicit-def: $vgpr4
.LBB53_43:
	v_add_u32_e32 v4, 3, v2
.LBB53_44:
	v_mov_b32_e32 v5, 0
	s_and_b64 vcc, exec, s[8:9]
	v_mov_b32_e32 v2, 0
	s_cbranch_vccnz .LBB53_46
; %bb.45:
	v_add_u32_e32 v1, s17, v3
	v_mov_b32_e32 v2, 0
	v_lshlrev_b64 v[1:2], 1, v[1:2]
	v_mov_b32_e32 v3, s23
	v_add_co_u32_e32 v1, vcc, s22, v1
	v_addc_co_u32_e32 v2, vcc, v3, v2, vcc
	global_load_ushort v1, v[1:2], off
	s_waitcnt vmcnt(0)
	v_lshlrev_b32_e32 v2, 16, v1
.LBB53_46:
	s_and_b64 vcc, exec, s[10:11]
	s_cbranch_vccnz .LBB53_48
; %bb.47:
	v_add_u32_e32 v3, s17, v4
	v_mov_b32_e32 v4, 0
	v_lshlrev_b64 v[3:4], 1, v[3:4]
	v_mov_b32_e32 v1, s25
	v_add_co_u32_e32 v3, vcc, s24, v3
	v_addc_co_u32_e32 v4, vcc, v1, v4, vcc
	global_load_ushort v1, v[3:4], off
	s_waitcnt vmcnt(0)
	v_lshlrev_b32_e32 v5, 16, v1
.LBB53_48:
	s_waitcnt vmcnt(0)
	v_mul_f32_e32 v1, v13, v15
	v_fmac_f32_e32 v1, v11, v14
	s_mov_b32 s4, 0x7f800000
	v_and_b32_e32 v3, 0x7f800000, v1
	v_cmp_ne_u32_e32 vcc, s4, v3
                                        ; implicit-def: $vgpr3
	s_and_saveexec_b64 s[4:5], vcc
	s_xor_b64 s[4:5], exec, s[4:5]
; %bb.49:
	v_bfe_u32 v3, v1, 16, 1
	s_movk_i32 s6, 0x7fff
	v_add3_u32 v3, v1, v3, s6
                                        ; implicit-def: $vgpr1
; %bb.50:
	s_andn2_saveexec_b64 s[4:5], s[4:5]
; %bb.51:
	v_mov_b32_e32 v3, 0
	v_or_b32_e32 v4, 0x10000, v1
	v_cmp_eq_u32_sdwa vcc, v1, v3 src0_sel:WORD_0 src1_sel:DWORD
	v_cndmask_b32_e32 v3, v4, v1, vcc
; %bb.52:
	s_or_b64 exec, exec, s[4:5]
	s_load_dwordx2 s[4:5], s[26:27], 0x4
	v_mul_f32_e32 v4, v13, v17
	v_fmac_f32_e32 v4, v11, v16
	v_and_b32_e32 v14, 0x7f800000, v4
	v_lshrrev_b32_e32 v3, 16, v3
	s_waitcnt lgkmcnt(0)
	s_lshr_b32 s4, s4, 16
	s_mul_i32 s4, s4, s5
	v_mul_lo_u32 v1, s4, v42
	s_mov_b32 s4, 0x7f800000
	v_cmp_ne_u32_e32 vcc, s4, v14
                                        ; implicit-def: $vgpr14
	v_mad_u32_u24 v6, v43, s5, v1
	v_add_lshl_u32 v6, v6, v41, 3
	ds_write_b16 v6, v3
	s_and_saveexec_b64 s[6:7], vcc
	s_xor_b64 s[6:7], exec, s[6:7]
; %bb.53:
	v_bfe_u32 v14, v4, 16, 1
	s_movk_i32 s4, 0x7fff
	v_add3_u32 v14, v4, v14, s4
                                        ; implicit-def: $vgpr4
; %bb.54:
	s_andn2_saveexec_b64 s[6:7], s[6:7]
; %bb.55:
	v_mov_b32_e32 v14, 0
	v_or_b32_e32 v15, 0x10000, v4
	v_cmp_eq_u32_sdwa vcc, v4, v14 src0_sel:WORD_0 src1_sel:DWORD
	v_cndmask_b32_e32 v14, v15, v4, vcc
; %bb.56:
	s_or_b64 exec, exec, s[6:7]
	v_lshrrev_b32_e32 v4, 16, v14
	v_mul_f32_e32 v14, v13, v18
	v_fmac_f32_e32 v14, v11, v7
	s_mov_b32 s4, 0x7f800000
	v_and_b32_e32 v7, 0x7f800000, v14
	v_cmp_ne_u32_e32 vcc, s4, v7
	ds_write_b16 v6, v4 offset:2
                                        ; implicit-def: $vgpr7
	s_and_saveexec_b64 s[6:7], vcc
	s_xor_b64 s[6:7], exec, s[6:7]
; %bb.57:
	v_bfe_u32 v7, v14, 16, 1
	s_movk_i32 s4, 0x7fff
	v_add3_u32 v7, v14, v7, s4
                                        ; implicit-def: $vgpr14
; %bb.58:
	s_andn2_saveexec_b64 s[6:7], s[6:7]
; %bb.59:
	v_mov_b32_e32 v7, 0
	v_or_b32_e32 v15, 0x10000, v14
	v_cmp_eq_u32_sdwa vcc, v14, v7 src0_sel:WORD_0 src1_sel:DWORD
	v_cndmask_b32_e32 v7, v15, v14, vcc
; %bb.60:
	s_or_b64 exec, exec, s[6:7]
	v_mul_f32_e32 v5, v13, v5
	v_fmac_f32_e32 v5, v11, v2
	s_mov_b32 s4, 0x7f800000
	v_and_b32_e32 v2, 0x7f800000, v5
	v_lshrrev_b32_e32 v7, 16, v7
	v_cmp_ne_u32_e32 vcc, s4, v2
	ds_write_b16 v6, v7 offset:4
                                        ; implicit-def: $vgpr11
	s_and_saveexec_b64 s[6:7], vcc
	s_xor_b64 s[6:7], exec, s[6:7]
; %bb.61:
	v_bfe_u32 v2, v5, 16, 1
	s_movk_i32 s4, 0x7fff
	v_add3_u32 v11, v5, v2, s4
                                        ; implicit-def: $vgpr5
; %bb.62:
	s_andn2_saveexec_b64 s[6:7], s[6:7]
; %bb.63:
	v_mov_b32_e32 v2, 0
	v_or_b32_e32 v11, 0x10000, v5
	v_cmp_eq_u32_sdwa vcc, v5, v2 src0_sel:WORD_0 src1_sel:DWORD
	v_cndmask_b32_e32 v11, v11, v5, vcc
; %bb.64:
	s_or_b64 exec, exec, s[6:7]
	v_mul_lo_u32 v2, v0, s16
	v_lshrrev_b32_e32 v0, 16, v11
	v_cmp_ge_u32_e32 vcc, s12, v12
	ds_write_b16 v6, v0 offset:6
	s_and_saveexec_b64 s[6:7], vcc
	s_xor_b64 s[6:7], exec, s[6:7]
	s_cbranch_execz .LBB53_66
; %bb.65:
	v_add_u32_e32 v1, s17, v10
	v_sub_u32_e32 v1, v1, v9
	v_add_u32_e32 v1, v1, v2
	v_mov_b32_e32 v2, 0
	v_lshlrev_b64 v[5:6], 1, v[1:2]
	v_mov_b32_e32 v8, s21
	v_add_co_u32_e32 v5, vcc, s20, v5
	v_addc_co_u32_e32 v6, vcc, v8, v6, vcc
	global_store_short v[5:6], v3, off
	v_add_u32_e32 v5, 1, v1
	v_mov_b32_e32 v6, v2
	v_lshlrev_b64 v[5:6], 1, v[5:6]
	v_mov_b32_e32 v3, s21
	v_add_co_u32_e32 v5, vcc, s20, v5
	v_addc_co_u32_e32 v6, vcc, v3, v6, vcc
	global_store_short v[5:6], v4, off
	v_add_u32_e32 v3, 2, v1
	v_mov_b32_e32 v4, v2
	v_lshlrev_b64 v[3:4], 1, v[3:4]
	v_add_u32_e32 v1, 3, v1
	v_mov_b32_e32 v5, s21
	v_add_co_u32_e32 v3, vcc, s20, v3
	v_lshlrev_b64 v[1:2], 1, v[1:2]
	v_addc_co_u32_e32 v4, vcc, v5, v4, vcc
	global_store_short v[3:4], v7, off
	v_mov_b32_e32 v3, s21
	v_add_co_u32_e32 v1, vcc, s20, v1
	v_addc_co_u32_e32 v2, vcc, v3, v2, vcc
	global_store_short v[1:2], v0, off
                                        ; implicit-def: $vgpr9
                                        ; implicit-def: $vgpr43
                                        ; implicit-def: $vgpr8
                                        ; implicit-def: $vgpr2
                                        ; implicit-def: $vgpr41
                                        ; implicit-def: $vgpr1
                                        ; implicit-def: $vgpr42
.LBB53_66:
	s_andn2_saveexec_b64 s[6:7], s[6:7]
	s_cbranch_execz .LBB53_70
; %bb.67:
	v_cmp_gt_u32_e32 vcc, 4, v9
	s_and_b64 exec, exec, vcc
	s_cbranch_execz .LBB53_70
; %bb.68:
	v_mul_u32_u24_e32 v4, s5, v43
	v_lshl_or_b32 v0, s34, 6, v8
	s_lshl_b32 s4, s13, 6
	v_subrev_u32_e32 v3, s4, v0
	v_add3_u32 v0, s17, v2, v0
	v_add3_u32 v1, v4, v41, v1
	v_and_b32_e32 v2, 15, v42
	v_add_u32_e32 v5, 4, v3
	v_add_lshl_u32 v1, v1, v2, 3
	v_min_u32_e32 v5, s12, v5
	v_subrev_u32_e32 v0, s4, v0
	v_lshl_add_u32 v1, s34, 7, v1
	s_lshl_b32 s4, s13, 7
	v_subrev_u32_e32 v1, s4, v1
	v_lshlrev_b32_e32 v2, 1, v5
	v_sub_u32_e32 v3, v3, v5
	v_sub_u32_e32 v1, v1, v2
	v_add_u32_e32 v3, 3, v3
	v_add_u32_e32 v2, 8, v1
	s_mov_b64 s[6:7], 0
	v_mov_b32_e32 v1, 0
	v_mov_b32_e32 v4, s21
.LBB53_69:                              ; =>This Inner Loop Header: Depth=1
	ds_read_u16 v7, v2
	v_lshlrev_b64 v[5:6], 1, v[0:1]
	v_add_u32_e32 v3, 1, v3
	v_cmp_lt_u32_e32 vcc, 2, v3
	v_add_co_u32_e64 v5, s[4:5], s20, v5
	v_add_u32_e32 v0, 1, v0
	v_add_u32_e32 v2, 2, v2
	v_addc_co_u32_e64 v6, s[4:5], v4, v6, s[4:5]
	s_or_b64 s[6:7], vcc, s[6:7]
	s_waitcnt lgkmcnt(0)
	global_store_short v[5:6], v7, off
	s_andn2_b64 exec, exec, s[6:7]
	s_cbranch_execnz .LBB53_69
.LBB53_70:
	s_endpgm
	.section	.rodata,"a",@progbits
	.p2align	6, 0x0
	.amdhsa_kernel Transform_BF16_S_110_16_16_VW_4
		.amdhsa_group_segment_fixed_size 8192
		.amdhsa_private_segment_fixed_size 64
		.amdhsa_kernarg_size 344
		.amdhsa_user_sgpr_count 10
		.amdhsa_user_sgpr_private_segment_buffer 1
		.amdhsa_user_sgpr_dispatch_ptr 1
		.amdhsa_user_sgpr_queue_ptr 0
		.amdhsa_user_sgpr_kernarg_segment_ptr 1
		.amdhsa_user_sgpr_dispatch_id 0
		.amdhsa_user_sgpr_flat_scratch_init 1
		.amdhsa_user_sgpr_private_segment_size 0
		.amdhsa_uses_dynamic_stack 0
		.amdhsa_system_sgpr_private_segment_wavefront_offset 1
		.amdhsa_system_sgpr_workgroup_id_x 1
		.amdhsa_system_sgpr_workgroup_id_y 0
		.amdhsa_system_sgpr_workgroup_id_z 1
		.amdhsa_system_sgpr_workgroup_info 0
		.amdhsa_system_vgpr_workitem_id 2
		.amdhsa_next_free_vgpr 44
		.amdhsa_next_free_sgpr 36
		.amdhsa_reserve_vcc 1
		.amdhsa_reserve_flat_scratch 1
		.amdhsa_float_round_mode_32 0
		.amdhsa_float_round_mode_16_64 0
		.amdhsa_float_denorm_mode_32 3
		.amdhsa_float_denorm_mode_16_64 3
		.amdhsa_dx10_clamp 1
		.amdhsa_ieee_mode 1
		.amdhsa_fp16_overflow 0
		.amdhsa_exception_fp_ieee_invalid_op 0
		.amdhsa_exception_fp_denorm_src 0
		.amdhsa_exception_fp_ieee_div_zero 0
		.amdhsa_exception_fp_ieee_overflow 0
		.amdhsa_exception_fp_ieee_underflow 0
		.amdhsa_exception_fp_ieee_inexact 0
		.amdhsa_exception_int_div_zero 0
	.end_amdhsa_kernel
	.text
.Lfunc_end53:
	.size	Transform_BF16_S_110_16_16_VW_4, .Lfunc_end53-Transform_BF16_S_110_16_16_VW_4
                                        ; -- End function
	.set Transform_BF16_S_110_16_16_VW_4.num_vgpr, max(44, .L__assert_fail.num_vgpr)
	.set Transform_BF16_S_110_16_16_VW_4.num_agpr, max(0, .L__assert_fail.num_agpr)
	.set Transform_BF16_S_110_16_16_VW_4.numbered_sgpr, max(36, .L__assert_fail.numbered_sgpr)
	.set Transform_BF16_S_110_16_16_VW_4.num_named_barrier, max(0, .L__assert_fail.num_named_barrier)
	.set Transform_BF16_S_110_16_16_VW_4.private_seg_size, 0+max(.L__assert_fail.private_seg_size)
	.set Transform_BF16_S_110_16_16_VW_4.uses_vcc, or(1, .L__assert_fail.uses_vcc)
	.set Transform_BF16_S_110_16_16_VW_4.uses_flat_scratch, or(1, .L__assert_fail.uses_flat_scratch)
	.set Transform_BF16_S_110_16_16_VW_4.has_dyn_sized_stack, or(0, .L__assert_fail.has_dyn_sized_stack)
	.set Transform_BF16_S_110_16_16_VW_4.has_recursion, or(0, .L__assert_fail.has_recursion)
	.set Transform_BF16_S_110_16_16_VW_4.has_indirect_call, or(0, .L__assert_fail.has_indirect_call)
	.section	.AMDGPU.csdata,"",@progbits
; Kernel info:
; codeLenInByte = 2088
; TotalNumSgprs: 42
; NumVgprs: 44
; ScratchSize: 64
; MemoryBound: 0
; FloatMode: 240
; IeeeMode: 1
; LDSByteSize: 8192 bytes/workgroup (compile time only)
; SGPRBlocks: 5
; VGPRBlocks: 10
; NumSGPRsForWavesPerEU: 42
; NumVGPRsForWavesPerEU: 44
; Occupancy: 5
; WaveLimiterHint : 1
; COMPUTE_PGM_RSRC2:SCRATCH_EN: 1
; COMPUTE_PGM_RSRC2:USER_SGPR: 10
; COMPUTE_PGM_RSRC2:TRAP_HANDLER: 0
; COMPUTE_PGM_RSRC2:TGID_X_EN: 1
; COMPUTE_PGM_RSRC2:TGID_Y_EN: 0
; COMPUTE_PGM_RSRC2:TGID_Z_EN: 1
; COMPUTE_PGM_RSRC2:TIDIG_COMP_CNT: 2
	.text
	.protected	Transform_BF16_S_101_16_16_VW_1 ; -- Begin function Transform_BF16_S_101_16_16_VW_1
	.globl	Transform_BF16_S_101_16_16_VW_1
	.p2align	8
	.type	Transform_BF16_S_101_16_16_VW_1,@function
Transform_BF16_S_101_16_16_VW_1:        ; @Transform_BF16_S_101_16_16_VW_1
; %bb.0:
	s_mov_b64 s[26:27], s[4:5]
	s_load_dword s4, s[4:5], 0x64
	s_add_u32 flat_scratch_lo, s6, s10
	s_addc_u32 flat_scratch_hi, s7, 0
	s_add_u32 s0, s0, s10
	s_addc_u32 s1, s1, 0
	s_waitcnt lgkmcnt(0)
	s_and_b32 s4, s4, 0xffff
	s_mov_b32 s28, s9
	s_mov_b32 s29, s8
	v_mov_b32_e32 v41, v0
	s_cmpk_eq_i32 s4, 0x100
	s_mov_b64 s[4:5], -1
	s_mov_b32 s32, 0
	s_cbranch_scc1 .LBB54_2
; %bb.1:
	s_add_u32 s8, s26, 0x58
	s_addc_u32 s9, s27, 0
	s_getpc_b64 s[4:5]
	s_add_u32 s4, s4, __PRETTY_FUNCTION__._ZN10amd_detail9transformI12hip_bfloat16fLb1ELb0ELb1ELj16ELj16ELj1EEEvPT_PKS2_S5_T0_PKS6_S6_S8_jjjjjjbb@rel32@lo+4
	s_addc_u32 s5, s5, __PRETTY_FUNCTION__._ZN10amd_detail9transformI12hip_bfloat16fLb1ELb0ELb1ELj16ELj16ELj1EEEvPT_PKS2_S5_T0_PKS6_S6_S8_jjjjjjbb@rel32@hi+12
	s_getpc_b64 s[6:7]
	s_add_u32 s6, s6, __assert_fail@rel32@lo+4
	s_addc_u32 s7, s7, __assert_fail@rel32@hi+12
	v_mov_b32_e32 v0, s4
	v_mov_b32_e32 v1, s5
	s_swappc_b64 s[30:31], s[6:7]
	s_mov_b64 s[4:5], 0
	; divergent unreachable
.LBB54_2:
	s_andn2_b64 vcc, exec, s[4:5]
	s_cbranch_vccnz .LBB54_17
; %bb.3:
	s_load_dwordx8 s[4:11], s[26:27], 0x38
	s_waitcnt lgkmcnt(0)
	s_lshr_b32 s11, s4, 4
	s_and_b32 s12, s4, 15
	s_cmp_lg_u32 s12, 0
	s_cselect_b64 s[12:13], -1, 0
	s_cmp_lg_u64 s[12:13], 0
	s_addc_u32 s11, s11, 0
	v_cvt_f32_u32_e32 v0, s11
	s_load_dword s15, s[26:27], 0x18
	s_load_dwordx2 s[12:13], s[26:27], 0x20
	s_sub_i32 s14, 0, s11
	v_rcp_iflag_f32_e32 v0, v0
	s_waitcnt lgkmcnt(0)
	v_mov_b32_e32 v2, s15
	v_mul_f32_e32 v0, 0x4f7ffffe, v0
	v_cvt_u32_f32_e32 v0, v0
	v_readfirstlane_b32 s16, v0
	s_mul_i32 s14, s14, s16
	s_mul_hi_u32 s14, s16, s14
	s_add_i32 s16, s16, s14
	s_mul_hi_u32 s14, s29, s16
	s_cmp_eq_u64 s[12:13], 0
	s_cbranch_scc1 .LBB54_5
; %bb.4:
	v_mov_b32_e32 v0, 0
	global_load_dword v2, v0, s[12:13]
.LBB54_5:
	s_load_dwordx2 s[12:13], s[26:27], 0x30
	s_load_dword s15, s[26:27], 0x28
	s_waitcnt lgkmcnt(0)
	s_cmp_eq_u64 s[12:13], 0
	v_mov_b32_e32 v3, s15
	s_cbranch_scc1 .LBB54_7
; %bb.6:
	v_mov_b32_e32 v0, 0
	global_load_dword v3, v0, s[12:13]
.LBB54_7:
	s_mul_i32 s12, s14, s11
	s_sub_i32 s12, s29, s12
	s_add_i32 s13, s14, 1
	s_sub_i32 s15, s12, s11
	s_cmp_ge_u32 s12, s11
	s_cselect_b32 s13, s13, s14
	s_cselect_b32 s12, s15, s12
	s_add_i32 s14, s13, 1
	s_cmp_ge_u32 s12, s11
	s_cselect_b32 s12, s14, s13
	s_mul_i32 s11, s12, s11
	s_sub_i32 s11, s29, s11
	v_and_b32_e32 v0, 15, v41
	v_lshrrev_b32_e32 v4, 4, v41
	v_lshl_or_b32 v1, s11, 4, v0
	v_lshl_add_u32 v0, s12, 4, v4
	v_cmp_gt_u32_e32 vcc, s4, v1
	v_cmp_gt_u32_e64 s[4:5], s5, v0
	s_and_b64 s[4:5], vcc, s[4:5]
	s_and_saveexec_b64 s[12:13], s[4:5]
	s_cbranch_execz .LBB54_17
; %bb.8:
	s_load_dwordx4 s[12:15], s[26:27], 0x0
	s_load_dwordx2 s[4:5], s[26:27], 0x10
	s_mul_i32 s9, s9, s28
	v_mov_b32_e32 v5, 0
	v_mov_b32_e32 v4, 0
	s_waitcnt lgkmcnt(0)
	s_cmp_eq_u64 s[14:15], 0
	s_cbranch_scc1 .LBB54_10
; %bb.9:
	s_bitcmp1_b32 s10, 0
	s_cselect_b64 vcc, -1, 0
	v_cndmask_b32_e32 v4, v1, v0, vcc
	v_mul_lo_u32 v4, v4, s6
	v_cndmask_b32_e32 v6, v0, v1, vcc
	v_mov_b32_e32 v7, 0
	v_add3_u32 v6, v6, s9, v4
	v_lshlrev_b64 v[6:7], 1, v[6:7]
	v_mov_b32_e32 v4, s15
	v_add_co_u32_e32 v6, vcc, s14, v6
	v_addc_co_u32_e32 v7, vcc, v4, v7, vcc
	global_load_ushort v4, v[6:7], off
	s_waitcnt vmcnt(0)
	v_lshlrev_b32_e32 v4, 16, v4
.LBB54_10:
	s_cmp_eq_u64 s[4:5], 0
	s_cbranch_scc1 .LBB54_12
; %bb.11:
	s_load_dword s6, s[26:27], 0x50
	v_mov_b32_e32 v6, 0
	v_mov_b32_e32 v7, s5
	s_waitcnt lgkmcnt(0)
	s_bitcmp1_b32 s6, 8
	s_cselect_b64 vcc, -1, 0
	v_cndmask_b32_e32 v5, v0, v1, vcc
	v_mul_lo_u32 v5, v5, s7
	v_cndmask_b32_e32 v8, v1, v0, vcc
	v_add3_u32 v5, v8, s9, v5
	v_lshlrev_b64 v[5:6], 1, v[5:6]
	v_add_co_u32_e32 v5, vcc, s4, v5
	v_addc_co_u32_e32 v6, vcc, v7, v6, vcc
	global_load_ushort v5, v[5:6], off
	s_waitcnt vmcnt(0)
	v_lshlrev_b32_e32 v5, 16, v5
.LBB54_12:
	s_waitcnt vmcnt(0)
	v_mul_f32_e32 v3, v3, v5
	v_fmac_f32_e32 v3, v2, v4
	s_mov_b32 s4, 0x7f800000
	v_and_b32_e32 v2, 0x7f800000, v3
	v_cmp_ne_u32_e32 vcc, s4, v2
                                        ; implicit-def: $vgpr2
	s_and_saveexec_b64 s[4:5], vcc
	s_xor_b64 s[4:5], exec, s[4:5]
; %bb.13:
	v_bfe_u32 v2, v3, 16, 1
	s_movk_i32 s6, 0x7fff
	v_add3_u32 v2, v3, v2, s6
                                        ; implicit-def: $vgpr3
; %bb.14:
	s_andn2_saveexec_b64 s[4:5], s[4:5]
; %bb.15:
	v_mov_b32_e32 v2, 0
	v_or_b32_e32 v4, 0x10000, v3
	v_cmp_eq_u32_sdwa vcc, v3, v2 src0_sel:WORD_0 src1_sel:DWORD
	v_cndmask_b32_e32 v2, v4, v3, vcc
; %bb.16:
	s_or_b64 exec, exec, s[4:5]
	v_mul_lo_u32 v3, v1, s8
	v_mov_b32_e32 v1, 0
	v_mov_b32_e32 v4, s13
	v_add3_u32 v0, v0, s9, v3
	v_lshlrev_b64 v[0:1], 1, v[0:1]
	v_add_co_u32_e32 v0, vcc, s12, v0
	v_addc_co_u32_e32 v1, vcc, v4, v1, vcc
	global_store_short_d16_hi v[0:1], v2, off
.LBB54_17:
	s_endpgm
	.section	.rodata,"a",@progbits
	.p2align	6, 0x0
	.amdhsa_kernel Transform_BF16_S_101_16_16_VW_1
		.amdhsa_group_segment_fixed_size 0
		.amdhsa_private_segment_fixed_size 64
		.amdhsa_kernarg_size 344
		.amdhsa_user_sgpr_count 8
		.amdhsa_user_sgpr_private_segment_buffer 1
		.amdhsa_user_sgpr_dispatch_ptr 0
		.amdhsa_user_sgpr_queue_ptr 0
		.amdhsa_user_sgpr_kernarg_segment_ptr 1
		.amdhsa_user_sgpr_dispatch_id 0
		.amdhsa_user_sgpr_flat_scratch_init 1
		.amdhsa_user_sgpr_private_segment_size 0
		.amdhsa_uses_dynamic_stack 0
		.amdhsa_system_sgpr_private_segment_wavefront_offset 1
		.amdhsa_system_sgpr_workgroup_id_x 1
		.amdhsa_system_sgpr_workgroup_id_y 0
		.amdhsa_system_sgpr_workgroup_id_z 1
		.amdhsa_system_sgpr_workgroup_info 0
		.amdhsa_system_vgpr_workitem_id 0
		.amdhsa_next_free_vgpr 42
		.amdhsa_next_free_sgpr 34
		.amdhsa_reserve_vcc 1
		.amdhsa_reserve_flat_scratch 1
		.amdhsa_float_round_mode_32 0
		.amdhsa_float_round_mode_16_64 0
		.amdhsa_float_denorm_mode_32 3
		.amdhsa_float_denorm_mode_16_64 3
		.amdhsa_dx10_clamp 1
		.amdhsa_ieee_mode 1
		.amdhsa_fp16_overflow 0
		.amdhsa_exception_fp_ieee_invalid_op 0
		.amdhsa_exception_fp_denorm_src 0
		.amdhsa_exception_fp_ieee_div_zero 0
		.amdhsa_exception_fp_ieee_overflow 0
		.amdhsa_exception_fp_ieee_underflow 0
		.amdhsa_exception_fp_ieee_inexact 0
		.amdhsa_exception_int_div_zero 0
	.end_amdhsa_kernel
	.text
.Lfunc_end54:
	.size	Transform_BF16_S_101_16_16_VW_1, .Lfunc_end54-Transform_BF16_S_101_16_16_VW_1
                                        ; -- End function
	.set Transform_BF16_S_101_16_16_VW_1.num_vgpr, max(42, .L__assert_fail.num_vgpr)
	.set Transform_BF16_S_101_16_16_VW_1.num_agpr, max(0, .L__assert_fail.num_agpr)
	.set Transform_BF16_S_101_16_16_VW_1.numbered_sgpr, max(33, .L__assert_fail.numbered_sgpr)
	.set Transform_BF16_S_101_16_16_VW_1.num_named_barrier, max(0, .L__assert_fail.num_named_barrier)
	.set Transform_BF16_S_101_16_16_VW_1.private_seg_size, 0+max(.L__assert_fail.private_seg_size)
	.set Transform_BF16_S_101_16_16_VW_1.uses_vcc, or(1, .L__assert_fail.uses_vcc)
	.set Transform_BF16_S_101_16_16_VW_1.uses_flat_scratch, or(1, .L__assert_fail.uses_flat_scratch)
	.set Transform_BF16_S_101_16_16_VW_1.has_dyn_sized_stack, or(0, .L__assert_fail.has_dyn_sized_stack)
	.set Transform_BF16_S_101_16_16_VW_1.has_recursion, or(0, .L__assert_fail.has_recursion)
	.set Transform_BF16_S_101_16_16_VW_1.has_indirect_call, or(0, .L__assert_fail.has_indirect_call)
	.section	.AMDGPU.csdata,"",@progbits
; Kernel info:
; codeLenInByte = 756
; TotalNumSgprs: 40
; NumVgprs: 42
; ScratchSize: 64
; MemoryBound: 0
; FloatMode: 240
; IeeeMode: 1
; LDSByteSize: 0 bytes/workgroup (compile time only)
; SGPRBlocks: 4
; VGPRBlocks: 10
; NumSGPRsForWavesPerEU: 40
; NumVGPRsForWavesPerEU: 42
; Occupancy: 5
; WaveLimiterHint : 1
; COMPUTE_PGM_RSRC2:SCRATCH_EN: 1
; COMPUTE_PGM_RSRC2:USER_SGPR: 8
; COMPUTE_PGM_RSRC2:TRAP_HANDLER: 0
; COMPUTE_PGM_RSRC2:TGID_X_EN: 1
; COMPUTE_PGM_RSRC2:TGID_Y_EN: 0
; COMPUTE_PGM_RSRC2:TGID_Z_EN: 1
; COMPUTE_PGM_RSRC2:TIDIG_COMP_CNT: 0
	.text
	.protected	Transform_BF16_S_101_16_16_VW_4 ; -- Begin function Transform_BF16_S_101_16_16_VW_4
	.globl	Transform_BF16_S_101_16_16_VW_4
	.p2align	8
	.type	Transform_BF16_S_101_16_16_VW_4,@function
Transform_BF16_S_101_16_16_VW_4:        ; @Transform_BF16_S_101_16_16_VW_4
; %bb.0:
	s_mov_b64 s[26:27], s[4:5]
	s_load_dword s4, s[6:7], 0x64
	s_add_u32 flat_scratch_lo, s8, s12
	s_addc_u32 flat_scratch_hi, s9, 0
	s_add_u32 s0, s0, s12
	s_addc_u32 s1, s1, 0
	s_waitcnt lgkmcnt(0)
	s_and_b32 s4, s4, 0xffff
	s_mov_b32 s35, s11
	s_mov_b32 s34, s10
	s_mov_b64 s[28:29], s[6:7]
	v_mov_b32_e32 v41, v2
	v_mov_b32_e32 v43, v1
	;; [unrolled: 1-line block ×3, first 2 shown]
	s_cmpk_eq_i32 s4, 0x100
	s_mov_b64 s[4:5], -1
	s_mov_b32 s32, 0
	s_cbranch_scc1 .LBB55_2
; %bb.1:
	s_add_u32 s8, s28, 0x58
	s_addc_u32 s9, s29, 0
	s_getpc_b64 s[4:5]
	s_add_u32 s4, s4, __PRETTY_FUNCTION__._ZN10amd_detail9transformI12hip_bfloat16fLb1ELb0ELb1ELj16ELj16ELj4EEEvPT_PKS2_S5_T0_PKS6_S6_S8_jjjjjjbb@rel32@lo+4
	s_addc_u32 s5, s5, __PRETTY_FUNCTION__._ZN10amd_detail9transformI12hip_bfloat16fLb1ELb0ELb1ELj16ELj16ELj4EEEvPT_PKS2_S5_T0_PKS6_S6_S8_jjjjjjbb@rel32@hi+12
	s_getpc_b64 s[6:7]
	s_add_u32 s6, s6, __assert_fail@rel32@lo+4
	s_addc_u32 s7, s7, __assert_fail@rel32@hi+12
	v_mov_b32_e32 v0, s4
	v_mov_b32_e32 v1, s5
	s_swappc_b64 s[30:31], s[6:7]
	s_mov_b64 s[4:5], 0
	; divergent unreachable
.LBB55_2:
	s_andn2_b64 vcc, exec, s[4:5]
	s_cbranch_vccnz .LBB55_70
; %bb.3:
	s_load_dwordx4 s[12:15], s[28:29], 0x38
	s_waitcnt lgkmcnt(0)
	s_lshr_b32 s6, s12, 4
	s_and_b32 s4, s12, 15
	s_cmp_lg_u32 s4, 0
	s_cselect_b64 s[4:5], -1, 0
	s_cmp_lg_u64 s[4:5], 0
	s_addc_u32 s6, s6, 0
	v_cvt_f32_u32_e32 v0, s6
	s_load_dword s8, s[28:29], 0x18
	s_load_dwordx2 s[4:5], s[28:29], 0x20
	s_sub_i32 s7, 0, s6
	v_rcp_iflag_f32_e32 v0, v0
	s_waitcnt lgkmcnt(0)
	v_mov_b32_e32 v13, s8
	v_mul_f32_e32 v0, 0x4f7ffffe, v0
	v_cvt_u32_f32_e32 v0, v0
	v_readfirstlane_b32 s9, v0
	s_mul_i32 s7, s7, s9
	s_mul_hi_u32 s7, s9, s7
	s_add_i32 s9, s9, s7
	s_mul_hi_u32 s7, s34, s9
	s_cmp_eq_u64 s[4:5], 0
	s_cbranch_scc1 .LBB55_5
; %bb.4:
	v_mov_b32_e32 v0, 0
	global_load_dword v13, v0, s[4:5]
.LBB55_5:
	s_load_dwordx2 s[4:5], s[28:29], 0x30
	s_load_dword s8, s[28:29], 0x28
	s_waitcnt lgkmcnt(0)
	s_cmp_eq_u64 s[4:5], 0
	v_mov_b32_e32 v14, s8
	s_cbranch_scc1 .LBB55_7
; %bb.6:
	v_mov_b32_e32 v0, 0
	global_load_dword v14, v0, s[4:5]
.LBB55_7:
	s_mul_i32 s4, s7, s6
	s_sub_i32 s4, s34, s4
	s_add_i32 s5, s7, 1
	s_sub_i32 s8, s4, s6
	s_cmp_ge_u32 s4, s6
	s_cselect_b32 s5, s5, s7
	s_cselect_b32 s4, s8, s4
	s_add_i32 s7, s5, 1
	s_cmp_ge_u32 s4, s6
	s_cselect_b32 s30, s7, s5
	s_mul_i32 s31, s30, s6
	s_sub_i32 s4, s34, s31
	v_and_b32_e32 v8, 15, v42
	v_lshl_or_b32 v0, s4, 4, v8
	v_cmp_gt_u32_e32 vcc, s12, v0
	s_and_saveexec_b64 s[4:5], vcc
	s_cbranch_execz .LBB55_70
; %bb.8:
	v_lshrrev_b32_e32 v1, 2, v42
	s_lshl_b32 s12, s30, 6
	v_and_b32_e32 v10, 0xfc, v1
	s_load_dwordx4 s[20:23], s[28:29], 0x48
	v_add_u32_e32 v9, s12, v10
	v_add_u32_e32 v12, 4, v9
	v_sub_u32_e64 v11, v12, s13 clamp
	s_load_dwordx4 s[16:19], s[28:29], 0x0
	s_load_dwordx2 s[24:25], s[28:29], 0x10
	v_sub_u32_e32 v1, v9, v11
	v_mad_u64_u32 v[4:5], s[4:5], v0, s14, v[1:2]
	s_waitcnt lgkmcnt(0)
	s_bitcmp1_b32 s22, 0
	s_cselect_b64 vcc, -1, 0
	s_cmp_lg_u64 s[18:19], 0
	s_mul_i32 s21, s21, s35
	s_cselect_b64 s[10:11], -1, 0
	s_cmp_eq_u64 s[18:19], 0
	v_mov_b32_e32 v16, 0
	v_mov_b32_e32 v15, 0
	s_cbranch_scc1 .LBB55_10
; %bb.9:
	v_mad_u64_u32 v[2:3], s[4:5], v1, s14, v[0:1]
	v_mov_b32_e32 v3, 0
	v_mov_b32_e32 v5, s19
	v_cndmask_b32_e32 v2, v4, v2, vcc
	v_add_u32_e32 v2, s21, v2
	v_lshlrev_b64 v[2:3], 1, v[2:3]
	v_add_co_u32_e64 v2, s[4:5], s18, v2
	v_addc_co_u32_e64 v3, s[4:5], v5, v3, s[4:5]
	global_load_ushort v2, v[2:3], off
	s_waitcnt vmcnt(0)
	v_lshlrev_b32_e32 v15, 16, v2
.LBB55_10:
	s_load_dword s6, s[28:29], 0x50
	s_xor_b64 s[8:9], vcc, -1
	v_mad_u64_u32 v[2:3], s[4:5], v0, s15, v[1:2]
	s_waitcnt lgkmcnt(0)
	s_bitcmp1_b32 s6, 8
	s_cselect_b64 s[6:7], -1, 0
	s_cmp_lg_u64 s[24:25], 0
	s_cselect_b64 s[22:23], -1, 0
	s_cmp_eq_u64 s[24:25], 0
	s_cbranch_scc1 .LBB55_12
; %bb.11:
	v_mad_u64_u32 v[5:6], s[4:5], v1, s15, v[0:1]
	v_mov_b32_e32 v6, 0
	v_mov_b32_e32 v3, s25
	v_cndmask_b32_e64 v5, v5, v2, s[6:7]
	v_add_u32_e32 v5, s21, v5
	v_lshlrev_b64 v[5:6], 1, v[5:6]
	v_add_co_u32_e32 v5, vcc, s24, v5
	v_addc_co_u32_e32 v6, vcc, v3, v6, vcc
	global_load_ushort v3, v[5:6], off
	s_waitcnt vmcnt(0)
	v_lshlrev_b32_e32 v16, 16, v3
.LBB55_12:
	v_cndmask_b32_e64 v3, 0, 1, s[8:9]
	v_cmp_ne_u32_e64 s[4:5], 1, v3
	s_andn2_b64 vcc, exec, s[8:9]
	s_cbranch_vccnz .LBB55_14
; %bb.13:
	v_add_u32_e32 v3, 1, v4
	s_xor_b64 s[8:9], s[6:7], -1
	s_cbranch_execz .LBB55_15
	s_branch .LBB55_16
.LBB55_14:
                                        ; implicit-def: $vgpr3
	s_xor_b64 s[8:9], s[6:7], -1
.LBB55_15:
	v_mul_lo_u32 v3, s14, v1
	v_add3_u32 v3, v3, s14, v0
.LBB55_16:
	v_cndmask_b32_e64 v5, 0, 1, s[8:9]
	v_cmp_ne_u32_e64 s[6:7], 1, v5
	s_andn2_b64 vcc, exec, s[8:9]
	s_cbranch_vccnz .LBB55_18
; %bb.17:
	v_mul_lo_u32 v5, s15, v1
	v_add3_u32 v5, v5, s15, v0
	s_cbranch_execz .LBB55_19
	s_branch .LBB55_20
.LBB55_18:
                                        ; implicit-def: $vgpr5
.LBB55_19:
	v_add_u32_e32 v5, 1, v2
.LBB55_20:
	v_cndmask_b32_e64 v6, 0, 1, s[10:11]
	v_mov_b32_e32 v18, 0
	v_cmp_ne_u32_e64 s[8:9], 1, v6
	s_andn2_b64 vcc, exec, s[10:11]
	v_mov_b32_e32 v17, 0
	s_cbranch_vccnz .LBB55_22
; %bb.21:
	v_add_u32_e32 v6, s21, v3
	v_mov_b32_e32 v7, 0
	v_lshlrev_b64 v[6:7], 1, v[6:7]
	v_mov_b32_e32 v3, s19
	v_add_co_u32_e32 v6, vcc, s18, v6
	v_addc_co_u32_e32 v7, vcc, v3, v7, vcc
	global_load_ushort v3, v[6:7], off
	s_waitcnt vmcnt(0)
	v_lshlrev_b32_e32 v17, 16, v3
.LBB55_22:
	v_cndmask_b32_e64 v3, 0, 1, s[22:23]
	v_cmp_ne_u32_e64 s[10:11], 1, v3
	s_andn2_b64 vcc, exec, s[22:23]
	s_cbranch_vccnz .LBB55_24
; %bb.23:
	v_add_u32_e32 v5, s21, v5
	v_mov_b32_e32 v6, 0
	v_lshlrev_b64 v[5:6], 1, v[5:6]
	v_mov_b32_e32 v3, s25
	v_add_co_u32_e32 v5, vcc, s24, v5
	v_addc_co_u32_e32 v6, vcc, v3, v6, vcc
	global_load_ushort v3, v[5:6], off
	s_waitcnt vmcnt(0)
	v_lshlrev_b32_e32 v18, 16, v3
.LBB55_24:
	s_and_b64 vcc, exec, s[4:5]
	s_cbranch_vccnz .LBB55_26
; %bb.25:
	v_add_u32_e32 v5, 2, v4
	v_add_u32_e32 v3, 2, v1
	s_cbranch_execz .LBB55_27
	s_branch .LBB55_28
.LBB55_26:
                                        ; implicit-def: $vgpr5
	v_add_u32_e32 v3, 2, v1
.LBB55_27:
	v_mad_u64_u32 v[5:6], s[22:23], v3, s14, v[0:1]
.LBB55_28:
	s_and_b64 vcc, exec, s[6:7]
	s_cbranch_vccnz .LBB55_30
; %bb.29:
	v_mad_u64_u32 v[6:7], s[22:23], v3, s15, v[0:1]
	s_cbranch_execz .LBB55_31
	s_branch .LBB55_32
.LBB55_30:
                                        ; implicit-def: $vgpr6
.LBB55_31:
	v_add_u32_e32 v6, 2, v2
.LBB55_32:
	v_mov_b32_e32 v19, 0
	s_and_b64 vcc, exec, s[8:9]
	v_mov_b32_e32 v7, 0
	s_cbranch_vccnz .LBB55_34
; %bb.33:
	v_add_u32_e32 v20, s21, v5
	v_mov_b32_e32 v21, 0
	v_lshlrev_b64 v[20:21], 1, v[20:21]
	v_mov_b32_e32 v3, s19
	v_add_co_u32_e32 v20, vcc, s18, v20
	v_addc_co_u32_e32 v21, vcc, v3, v21, vcc
	global_load_ushort v3, v[20:21], off
	s_waitcnt vmcnt(0)
	v_lshlrev_b32_e32 v7, 16, v3
.LBB55_34:
	s_and_b64 vcc, exec, s[10:11]
	s_cbranch_vccnz .LBB55_36
; %bb.35:
	v_add_u32_e32 v5, s21, v6
	v_mov_b32_e32 v6, 0
	v_lshlrev_b64 v[5:6], 1, v[5:6]
	v_mov_b32_e32 v3, s25
	v_add_co_u32_e32 v5, vcc, s24, v5
	v_addc_co_u32_e32 v6, vcc, v3, v6, vcc
	global_load_ushort v3, v[5:6], off
	s_waitcnt vmcnt(0)
	v_lshlrev_b32_e32 v19, 16, v3
.LBB55_36:
	s_and_b64 vcc, exec, s[4:5]
	s_cbranch_vccnz .LBB55_38
; %bb.37:
	v_add_u32_e32 v3, 3, v4
	v_add_u32_e32 v1, 3, v1
	s_cbranch_execz .LBB55_39
	s_branch .LBB55_40
.LBB55_38:
                                        ; implicit-def: $vgpr3
	v_add_u32_e32 v1, 3, v1
.LBB55_39:
	v_mad_u64_u32 v[3:4], s[4:5], v1, s14, v[0:1]
.LBB55_40:
	s_and_b64 vcc, exec, s[6:7]
	s_cbranch_vccnz .LBB55_42
; %bb.41:
	v_mad_u64_u32 v[4:5], s[4:5], v1, s15, v[0:1]
	s_cbranch_execz .LBB55_43
	s_branch .LBB55_44
.LBB55_42:
                                        ; implicit-def: $vgpr4
.LBB55_43:
	v_add_u32_e32 v4, 3, v2
.LBB55_44:
	v_mov_b32_e32 v5, 0
	s_and_b64 vcc, exec, s[8:9]
	v_mov_b32_e32 v2, 0
	s_cbranch_vccnz .LBB55_46
; %bb.45:
	v_add_u32_e32 v1, s21, v3
	v_mov_b32_e32 v2, 0
	v_lshlrev_b64 v[1:2], 1, v[1:2]
	v_mov_b32_e32 v3, s19
	v_add_co_u32_e32 v1, vcc, s18, v1
	v_addc_co_u32_e32 v2, vcc, v3, v2, vcc
	global_load_ushort v1, v[1:2], off
	s_waitcnt vmcnt(0)
	v_lshlrev_b32_e32 v2, 16, v1
.LBB55_46:
	s_and_b64 vcc, exec, s[10:11]
	s_cbranch_vccnz .LBB55_48
; %bb.47:
	v_add_u32_e32 v3, s21, v4
	v_mov_b32_e32 v4, 0
	v_lshlrev_b64 v[3:4], 1, v[3:4]
	v_mov_b32_e32 v1, s25
	v_add_co_u32_e32 v3, vcc, s24, v3
	v_addc_co_u32_e32 v4, vcc, v1, v4, vcc
	global_load_ushort v1, v[3:4], off
	s_waitcnt vmcnt(0)
	v_lshlrev_b32_e32 v5, 16, v1
.LBB55_48:
	s_waitcnt vmcnt(0)
	v_mul_f32_e32 v1, v14, v16
	v_fmac_f32_e32 v1, v13, v15
	s_mov_b32 s4, 0x7f800000
	v_and_b32_e32 v3, 0x7f800000, v1
	v_cmp_ne_u32_e32 vcc, s4, v3
                                        ; implicit-def: $vgpr3
	s_and_saveexec_b64 s[4:5], vcc
	s_xor_b64 s[4:5], exec, s[4:5]
; %bb.49:
	v_bfe_u32 v3, v1, 16, 1
	s_movk_i32 s6, 0x7fff
	v_add3_u32 v3, v1, v3, s6
                                        ; implicit-def: $vgpr1
; %bb.50:
	s_andn2_saveexec_b64 s[4:5], s[4:5]
; %bb.51:
	v_mov_b32_e32 v3, 0
	v_or_b32_e32 v4, 0x10000, v1
	v_cmp_eq_u32_sdwa vcc, v1, v3 src0_sel:WORD_0 src1_sel:DWORD
	v_cndmask_b32_e32 v3, v4, v1, vcc
; %bb.52:
	s_or_b64 exec, exec, s[4:5]
	s_load_dwordx2 s[4:5], s[26:27], 0x4
	v_mul_f32_e32 v4, v14, v18
	v_fmac_f32_e32 v4, v13, v17
	v_and_b32_e32 v15, 0x7f800000, v4
	v_lshrrev_b32_e32 v3, 16, v3
	s_waitcnt lgkmcnt(0)
	s_lshr_b32 s4, s4, 16
	s_mul_i32 s4, s4, s5
	v_mul_lo_u32 v1, s4, v42
	s_mov_b32 s4, 0x7f800000
	v_cmp_ne_u32_e32 vcc, s4, v15
                                        ; implicit-def: $vgpr15
	v_mad_u32_u24 v6, v43, s5, v1
	v_add_lshl_u32 v6, v6, v41, 3
	ds_write_b16 v6, v3
	s_and_saveexec_b64 s[6:7], vcc
	s_xor_b64 s[6:7], exec, s[6:7]
; %bb.53:
	v_bfe_u32 v15, v4, 16, 1
	s_movk_i32 s4, 0x7fff
	v_add3_u32 v15, v4, v15, s4
                                        ; implicit-def: $vgpr4
; %bb.54:
	s_andn2_saveexec_b64 s[6:7], s[6:7]
; %bb.55:
	v_mov_b32_e32 v15, 0
	v_or_b32_e32 v16, 0x10000, v4
	v_cmp_eq_u32_sdwa vcc, v4, v15 src0_sel:WORD_0 src1_sel:DWORD
	v_cndmask_b32_e32 v15, v16, v4, vcc
; %bb.56:
	s_or_b64 exec, exec, s[6:7]
	v_lshrrev_b32_e32 v4, 16, v15
	v_mul_f32_e32 v15, v14, v19
	v_fmac_f32_e32 v15, v13, v7
	s_mov_b32 s4, 0x7f800000
	v_and_b32_e32 v7, 0x7f800000, v15
	v_cmp_ne_u32_e32 vcc, s4, v7
	ds_write_b16 v6, v4 offset:2
                                        ; implicit-def: $vgpr7
	s_and_saveexec_b64 s[6:7], vcc
	s_xor_b64 s[6:7], exec, s[6:7]
; %bb.57:
	v_bfe_u32 v7, v15, 16, 1
	s_movk_i32 s4, 0x7fff
	v_add3_u32 v7, v15, v7, s4
                                        ; implicit-def: $vgpr15
; %bb.58:
	s_andn2_saveexec_b64 s[6:7], s[6:7]
; %bb.59:
	v_mov_b32_e32 v7, 0
	v_or_b32_e32 v16, 0x10000, v15
	v_cmp_eq_u32_sdwa vcc, v15, v7 src0_sel:WORD_0 src1_sel:DWORD
	v_cndmask_b32_e32 v7, v16, v15, vcc
; %bb.60:
	s_or_b64 exec, exec, s[6:7]
	v_mul_f32_e32 v5, v14, v5
	v_fmac_f32_e32 v5, v13, v2
	s_mov_b32 s4, 0x7f800000
	v_and_b32_e32 v2, 0x7f800000, v5
	v_lshrrev_b32_e32 v7, 16, v7
	v_cmp_ne_u32_e32 vcc, s4, v2
	ds_write_b16 v6, v7 offset:4
                                        ; implicit-def: $vgpr2
	s_and_saveexec_b64 s[6:7], vcc
	s_xor_b64 s[6:7], exec, s[6:7]
; %bb.61:
	v_bfe_u32 v2, v5, 16, 1
	s_movk_i32 s4, 0x7fff
	v_add3_u32 v2, v5, v2, s4
                                        ; implicit-def: $vgpr5
; %bb.62:
	s_andn2_saveexec_b64 s[6:7], s[6:7]
; %bb.63:
	v_mov_b32_e32 v2, 0
	v_or_b32_e32 v13, 0x10000, v5
	v_cmp_eq_u32_sdwa vcc, v5, v2 src0_sel:WORD_0 src1_sel:DWORD
	v_cndmask_b32_e32 v2, v13, v5, vcc
; %bb.64:
	s_or_b64 exec, exec, s[6:7]
	v_lshrrev_b32_e32 v2, 16, v2
	v_cmp_ge_u32_e32 vcc, s13, v12
	ds_write_b16 v6, v2 offset:6
	s_and_saveexec_b64 s[6:7], vcc
	s_xor_b64 s[6:7], exec, s[6:7]
	s_cbranch_execz .LBB55_66
; %bb.65:
	v_mul_lo_u32 v0, v0, s20
	v_mov_b32_e32 v1, 0
	v_mov_b32_e32 v8, s17
                                        ; implicit-def: $vgpr10
                                        ; implicit-def: $vgpr12
                                        ; implicit-def: $vgpr42
                                        ; implicit-def: $vgpr43
                                        ; implicit-def: $vgpr41
	v_add3_u32 v0, v9, s21, v0
	v_sub_u32_e32 v0, v0, v11
	v_lshlrev_b64 v[5:6], 1, v[0:1]
                                        ; implicit-def: $vgpr9
                                        ; implicit-def: $vgpr11
	v_add_co_u32_e32 v5, vcc, s16, v5
	v_addc_co_u32_e32 v6, vcc, v8, v6, vcc
	global_store_short v[5:6], v3, off
	v_add_u32_e32 v5, 1, v0
	v_mov_b32_e32 v6, v1
	v_lshlrev_b64 v[5:6], 1, v[5:6]
	v_mov_b32_e32 v3, s17
	v_add_co_u32_e32 v5, vcc, s16, v5
	v_addc_co_u32_e32 v6, vcc, v3, v6, vcc
	global_store_short v[5:6], v4, off
	v_add_u32_e32 v3, 2, v0
	v_mov_b32_e32 v4, v1
	v_lshlrev_b64 v[3:4], 1, v[3:4]
	v_add_u32_e32 v0, 3, v0
	v_mov_b32_e32 v5, s17
	v_add_co_u32_e32 v3, vcc, s16, v3
	v_lshlrev_b64 v[0:1], 1, v[0:1]
	v_addc_co_u32_e32 v4, vcc, v5, v4, vcc
	global_store_short v[3:4], v7, off
	v_mov_b32_e32 v3, s17
	v_add_co_u32_e32 v0, vcc, s16, v0
	v_addc_co_u32_e32 v1, vcc, v3, v1, vcc
	global_store_short v[0:1], v2, off
                                        ; implicit-def: $vgpr8
                                        ; implicit-def: $vgpr1
.LBB55_66:
	s_andn2_saveexec_b64 s[6:7], s[6:7]
	s_cbranch_execz .LBB55_70
; %bb.67:
	v_cmp_gt_u32_e32 vcc, 4, v11
	s_and_b64 exec, exec, vcc
	s_cbranch_execz .LBB55_70
; %bb.68:
	v_lshl_or_b32 v0, s34, 4, v8
	s_lshl_b32 s4, s31, 4
	v_mul_u32_u24_e32 v3, s5, v43
	v_subrev_u32_e32 v0, s4, v0
	v_lshrrev_b32_e32 v5, 4, v42
	v_mul_lo_u32 v0, s20, v0
	v_add3_u32 v3, v3, v41, v5
	v_min_u32_e32 v4, s13, v12
	v_add_lshl_u32 v1, v3, v1, 3
	v_lshl_add_u32 v1, s30, 7, v1
	v_lshlrev_b32_e32 v3, 1, v4
	v_sub_u32_e32 v2, v9, v4
	s_add_i32 s12, s12, s21
	v_sub_u32_e32 v1, v1, v3
	v_add_u32_e32 v2, 3, v2
	v_add3_u32 v0, s12, v0, v10
	v_add_u32_e32 v3, 8, v1
	s_mov_b64 s[6:7], 0
	v_mov_b32_e32 v1, 0
	v_mov_b32_e32 v4, s17
.LBB55_69:                              ; =>This Inner Loop Header: Depth=1
	ds_read_u16 v7, v3
	v_lshlrev_b64 v[5:6], 1, v[0:1]
	v_add_u32_e32 v2, 1, v2
	v_cmp_lt_u32_e32 vcc, 2, v2
	v_add_co_u32_e64 v5, s[4:5], s16, v5
	v_add_u32_e32 v0, 1, v0
	v_add_u32_e32 v3, 2, v3
	v_addc_co_u32_e64 v6, s[4:5], v4, v6, s[4:5]
	s_or_b64 s[6:7], vcc, s[6:7]
	s_waitcnt lgkmcnt(0)
	global_store_short v[5:6], v7, off
	s_andn2_b64 exec, exec, s[6:7]
	s_cbranch_execnz .LBB55_69
.LBB55_70:
	s_endpgm
	.section	.rodata,"a",@progbits
	.p2align	6, 0x0
	.amdhsa_kernel Transform_BF16_S_101_16_16_VW_4
		.amdhsa_group_segment_fixed_size 8192
		.amdhsa_private_segment_fixed_size 64
		.amdhsa_kernarg_size 344
		.amdhsa_user_sgpr_count 10
		.amdhsa_user_sgpr_private_segment_buffer 1
		.amdhsa_user_sgpr_dispatch_ptr 1
		.amdhsa_user_sgpr_queue_ptr 0
		.amdhsa_user_sgpr_kernarg_segment_ptr 1
		.amdhsa_user_sgpr_dispatch_id 0
		.amdhsa_user_sgpr_flat_scratch_init 1
		.amdhsa_user_sgpr_private_segment_size 0
		.amdhsa_uses_dynamic_stack 0
		.amdhsa_system_sgpr_private_segment_wavefront_offset 1
		.amdhsa_system_sgpr_workgroup_id_x 1
		.amdhsa_system_sgpr_workgroup_id_y 0
		.amdhsa_system_sgpr_workgroup_id_z 1
		.amdhsa_system_sgpr_workgroup_info 0
		.amdhsa_system_vgpr_workitem_id 2
		.amdhsa_next_free_vgpr 44
		.amdhsa_next_free_sgpr 36
		.amdhsa_reserve_vcc 1
		.amdhsa_reserve_flat_scratch 1
		.amdhsa_float_round_mode_32 0
		.amdhsa_float_round_mode_16_64 0
		.amdhsa_float_denorm_mode_32 3
		.amdhsa_float_denorm_mode_16_64 3
		.amdhsa_dx10_clamp 1
		.amdhsa_ieee_mode 1
		.amdhsa_fp16_overflow 0
		.amdhsa_exception_fp_ieee_invalid_op 0
		.amdhsa_exception_fp_denorm_src 0
		.amdhsa_exception_fp_ieee_div_zero 0
		.amdhsa_exception_fp_ieee_overflow 0
		.amdhsa_exception_fp_ieee_underflow 0
		.amdhsa_exception_fp_ieee_inexact 0
		.amdhsa_exception_int_div_zero 0
	.end_amdhsa_kernel
	.text
.Lfunc_end55:
	.size	Transform_BF16_S_101_16_16_VW_4, .Lfunc_end55-Transform_BF16_S_101_16_16_VW_4
                                        ; -- End function
	.set Transform_BF16_S_101_16_16_VW_4.num_vgpr, max(44, .L__assert_fail.num_vgpr)
	.set Transform_BF16_S_101_16_16_VW_4.num_agpr, max(0, .L__assert_fail.num_agpr)
	.set Transform_BF16_S_101_16_16_VW_4.numbered_sgpr, max(36, .L__assert_fail.numbered_sgpr)
	.set Transform_BF16_S_101_16_16_VW_4.num_named_barrier, max(0, .L__assert_fail.num_named_barrier)
	.set Transform_BF16_S_101_16_16_VW_4.private_seg_size, 0+max(.L__assert_fail.private_seg_size)
	.set Transform_BF16_S_101_16_16_VW_4.uses_vcc, or(1, .L__assert_fail.uses_vcc)
	.set Transform_BF16_S_101_16_16_VW_4.uses_flat_scratch, or(1, .L__assert_fail.uses_flat_scratch)
	.set Transform_BF16_S_101_16_16_VW_4.has_dyn_sized_stack, or(0, .L__assert_fail.has_dyn_sized_stack)
	.set Transform_BF16_S_101_16_16_VW_4.has_recursion, or(0, .L__assert_fail.has_recursion)
	.set Transform_BF16_S_101_16_16_VW_4.has_indirect_call, or(0, .L__assert_fail.has_indirect_call)
	.section	.AMDGPU.csdata,"",@progbits
; Kernel info:
; codeLenInByte = 2104
; TotalNumSgprs: 42
; NumVgprs: 44
; ScratchSize: 64
; MemoryBound: 0
; FloatMode: 240
; IeeeMode: 1
; LDSByteSize: 8192 bytes/workgroup (compile time only)
; SGPRBlocks: 5
; VGPRBlocks: 10
; NumSGPRsForWavesPerEU: 42
; NumVGPRsForWavesPerEU: 44
; Occupancy: 5
; WaveLimiterHint : 1
; COMPUTE_PGM_RSRC2:SCRATCH_EN: 1
; COMPUTE_PGM_RSRC2:USER_SGPR: 10
; COMPUTE_PGM_RSRC2:TRAP_HANDLER: 0
; COMPUTE_PGM_RSRC2:TGID_X_EN: 1
; COMPUTE_PGM_RSRC2:TGID_Y_EN: 0
; COMPUTE_PGM_RSRC2:TGID_Z_EN: 1
; COMPUTE_PGM_RSRC2:TIDIG_COMP_CNT: 2
	.text
	.protected	Transform_BF16_S_100_16_16_VW_1 ; -- Begin function Transform_BF16_S_100_16_16_VW_1
	.globl	Transform_BF16_S_100_16_16_VW_1
	.p2align	8
	.type	Transform_BF16_S_100_16_16_VW_1,@function
Transform_BF16_S_100_16_16_VW_1:        ; @Transform_BF16_S_100_16_16_VW_1
; %bb.0:
	s_mov_b64 s[26:27], s[4:5]
	s_load_dword s4, s[4:5], 0x64
	s_add_u32 flat_scratch_lo, s6, s10
	s_addc_u32 flat_scratch_hi, s7, 0
	s_add_u32 s0, s0, s10
	s_addc_u32 s1, s1, 0
	s_waitcnt lgkmcnt(0)
	s_and_b32 s4, s4, 0xffff
	s_mov_b32 s28, s9
	s_mov_b32 s29, s8
	v_mov_b32_e32 v41, v0
	s_cmpk_eq_i32 s4, 0x100
	s_mov_b64 s[4:5], -1
	s_mov_b32 s32, 0
	s_cbranch_scc1 .LBB56_2
; %bb.1:
	s_add_u32 s8, s26, 0x58
	s_addc_u32 s9, s27, 0
	s_getpc_b64 s[4:5]
	s_add_u32 s4, s4, __PRETTY_FUNCTION__._ZN10amd_detail9transformI12hip_bfloat16fLb1ELb0ELb0ELj16ELj16ELj1EEEvPT_PKS2_S5_T0_PKS6_S6_S8_jjjjjjbb@rel32@lo+4
	s_addc_u32 s5, s5, __PRETTY_FUNCTION__._ZN10amd_detail9transformI12hip_bfloat16fLb1ELb0ELb0ELj16ELj16ELj1EEEvPT_PKS2_S5_T0_PKS6_S6_S8_jjjjjjbb@rel32@hi+12
	s_getpc_b64 s[6:7]
	s_add_u32 s6, s6, __assert_fail@rel32@lo+4
	s_addc_u32 s7, s7, __assert_fail@rel32@hi+12
	v_mov_b32_e32 v0, s4
	v_mov_b32_e32 v1, s5
	s_swappc_b64 s[30:31], s[6:7]
	s_mov_b64 s[4:5], 0
	; divergent unreachable
.LBB56_2:
	s_andn2_b64 vcc, exec, s[4:5]
	s_cbranch_vccnz .LBB56_17
; %bb.3:
	s_load_dwordx8 s[4:11], s[26:27], 0x38
	s_waitcnt lgkmcnt(0)
	s_lshr_b32 s11, s4, 4
	s_and_b32 s12, s4, 15
	s_cmp_lg_u32 s12, 0
	s_cselect_b64 s[12:13], -1, 0
	s_cmp_lg_u64 s[12:13], 0
	s_addc_u32 s11, s11, 0
	v_cvt_f32_u32_e32 v0, s11
	s_load_dword s15, s[26:27], 0x18
	s_load_dwordx2 s[12:13], s[26:27], 0x20
	s_sub_i32 s14, 0, s11
	v_rcp_iflag_f32_e32 v0, v0
	s_waitcnt lgkmcnt(0)
	v_mov_b32_e32 v1, s15
	v_mul_f32_e32 v0, 0x4f7ffffe, v0
	v_cvt_u32_f32_e32 v0, v0
	v_readfirstlane_b32 s16, v0
	s_mul_i32 s14, s14, s16
	s_mul_hi_u32 s14, s16, s14
	s_add_i32 s16, s16, s14
	s_mul_hi_u32 s14, s29, s16
	s_cmp_eq_u64 s[12:13], 0
	s_cbranch_scc1 .LBB56_5
; %bb.4:
	v_mov_b32_e32 v0, 0
	global_load_dword v1, v0, s[12:13]
.LBB56_5:
	s_load_dwordx2 s[12:13], s[26:27], 0x30
	s_load_dword s15, s[26:27], 0x28
	s_waitcnt lgkmcnt(0)
	s_cmp_eq_u64 s[12:13], 0
	v_mov_b32_e32 v3, s15
	s_cbranch_scc1 .LBB56_7
; %bb.6:
	v_mov_b32_e32 v0, 0
	global_load_dword v3, v0, s[12:13]
.LBB56_7:
	s_mul_i32 s12, s14, s11
	s_sub_i32 s12, s29, s12
	s_add_i32 s13, s14, 1
	s_sub_i32 s15, s12, s11
	s_cmp_ge_u32 s12, s11
	s_cselect_b32 s13, s13, s14
	s_cselect_b32 s12, s15, s12
	s_add_i32 s14, s13, 1
	s_cmp_ge_u32 s12, s11
	s_cselect_b32 s12, s14, s13
	s_mul_i32 s11, s12, s11
	s_sub_i32 s11, s29, s11
	v_and_b32_e32 v0, 15, v41
	v_lshrrev_b32_e32 v2, 4, v41
	v_lshl_or_b32 v0, s11, 4, v0
	v_lshl_add_u32 v2, s12, 4, v2
	v_cmp_gt_u32_e32 vcc, s4, v0
	v_cmp_gt_u32_e64 s[4:5], s5, v2
	s_and_b64 s[4:5], vcc, s[4:5]
	s_and_saveexec_b64 s[12:13], s[4:5]
	s_cbranch_execz .LBB56_17
; %bb.8:
	s_load_dwordx4 s[12:15], s[26:27], 0x0
	s_load_dwordx2 s[4:5], s[26:27], 0x10
	s_mul_i32 s9, s9, s28
	v_mov_b32_e32 v5, 0
	v_mov_b32_e32 v4, 0
	s_waitcnt lgkmcnt(0)
	s_cmp_eq_u64 s[14:15], 0
	s_cbranch_scc1 .LBB56_10
; %bb.9:
	s_bitcmp1_b32 s10, 0
	s_cselect_b64 vcc, -1, 0
	v_cndmask_b32_e32 v4, v0, v2, vcc
	v_mul_lo_u32 v4, v4, s6
	v_cndmask_b32_e32 v6, v2, v0, vcc
	v_mov_b32_e32 v7, 0
	v_add3_u32 v6, v6, s9, v4
	v_lshlrev_b64 v[6:7], 1, v[6:7]
	v_mov_b32_e32 v4, s15
	v_add_co_u32_e32 v6, vcc, s14, v6
	v_addc_co_u32_e32 v7, vcc, v4, v7, vcc
	global_load_ushort v4, v[6:7], off
	s_waitcnt vmcnt(0)
	v_lshlrev_b32_e32 v4, 16, v4
.LBB56_10:
	s_cmp_eq_u64 s[4:5], 0
	s_cbranch_scc1 .LBB56_12
; %bb.11:
	s_load_dword s6, s[26:27], 0x50
	v_mov_b32_e32 v6, 0
	v_mov_b32_e32 v7, s5
	s_waitcnt lgkmcnt(0)
	s_bitcmp1_b32 s6, 8
	s_cselect_b64 vcc, -1, 0
	v_cndmask_b32_e32 v5, v2, v0, vcc
	v_mul_lo_u32 v5, v5, s7
	v_cndmask_b32_e32 v8, v0, v2, vcc
	v_add3_u32 v5, v8, s9, v5
	v_lshlrev_b64 v[5:6], 1, v[5:6]
	v_add_co_u32_e32 v5, vcc, s4, v5
	v_addc_co_u32_e32 v6, vcc, v7, v6, vcc
	global_load_ushort v5, v[5:6], off
	s_waitcnt vmcnt(0)
	v_lshlrev_b32_e32 v5, 16, v5
.LBB56_12:
	s_waitcnt vmcnt(0)
	v_mul_f32_e32 v3, v3, v5
	v_fmac_f32_e32 v3, v1, v4
	s_mov_b32 s4, 0x7f800000
	v_and_b32_e32 v1, 0x7f800000, v3
	v_cmp_ne_u32_e32 vcc, s4, v1
                                        ; implicit-def: $vgpr1
	s_and_saveexec_b64 s[4:5], vcc
	s_xor_b64 s[4:5], exec, s[4:5]
; %bb.13:
	v_bfe_u32 v1, v3, 16, 1
	s_movk_i32 s6, 0x7fff
	v_add3_u32 v1, v3, v1, s6
                                        ; implicit-def: $vgpr3
; %bb.14:
	s_andn2_saveexec_b64 s[4:5], s[4:5]
; %bb.15:
	v_mov_b32_e32 v1, 0
	v_or_b32_e32 v4, 0x10000, v3
	v_cmp_eq_u32_sdwa vcc, v3, v1 src0_sel:WORD_0 src1_sel:DWORD
	v_cndmask_b32_e32 v1, v4, v3, vcc
; %bb.16:
	s_or_b64 exec, exec, s[4:5]
	v_mul_lo_u32 v2, v2, s8
	v_mov_b32_e32 v3, 0
	v_mov_b32_e32 v4, s13
	v_add3_u32 v2, v0, s9, v2
	v_lshlrev_b64 v[2:3], 1, v[2:3]
	v_add_co_u32_e32 v2, vcc, s12, v2
	v_addc_co_u32_e32 v3, vcc, v4, v3, vcc
	global_store_short_d16_hi v[2:3], v1, off
.LBB56_17:
	s_endpgm
	.section	.rodata,"a",@progbits
	.p2align	6, 0x0
	.amdhsa_kernel Transform_BF16_S_100_16_16_VW_1
		.amdhsa_group_segment_fixed_size 0
		.amdhsa_private_segment_fixed_size 64
		.amdhsa_kernarg_size 344
		.amdhsa_user_sgpr_count 8
		.amdhsa_user_sgpr_private_segment_buffer 1
		.amdhsa_user_sgpr_dispatch_ptr 0
		.amdhsa_user_sgpr_queue_ptr 0
		.amdhsa_user_sgpr_kernarg_segment_ptr 1
		.amdhsa_user_sgpr_dispatch_id 0
		.amdhsa_user_sgpr_flat_scratch_init 1
		.amdhsa_user_sgpr_private_segment_size 0
		.amdhsa_uses_dynamic_stack 0
		.amdhsa_system_sgpr_private_segment_wavefront_offset 1
		.amdhsa_system_sgpr_workgroup_id_x 1
		.amdhsa_system_sgpr_workgroup_id_y 0
		.amdhsa_system_sgpr_workgroup_id_z 1
		.amdhsa_system_sgpr_workgroup_info 0
		.amdhsa_system_vgpr_workitem_id 0
		.amdhsa_next_free_vgpr 42
		.amdhsa_next_free_sgpr 34
		.amdhsa_reserve_vcc 1
		.amdhsa_reserve_flat_scratch 1
		.amdhsa_float_round_mode_32 0
		.amdhsa_float_round_mode_16_64 0
		.amdhsa_float_denorm_mode_32 3
		.amdhsa_float_denorm_mode_16_64 3
		.amdhsa_dx10_clamp 1
		.amdhsa_ieee_mode 1
		.amdhsa_fp16_overflow 0
		.amdhsa_exception_fp_ieee_invalid_op 0
		.amdhsa_exception_fp_denorm_src 0
		.amdhsa_exception_fp_ieee_div_zero 0
		.amdhsa_exception_fp_ieee_overflow 0
		.amdhsa_exception_fp_ieee_underflow 0
		.amdhsa_exception_fp_ieee_inexact 0
		.amdhsa_exception_int_div_zero 0
	.end_amdhsa_kernel
	.text
.Lfunc_end56:
	.size	Transform_BF16_S_100_16_16_VW_1, .Lfunc_end56-Transform_BF16_S_100_16_16_VW_1
                                        ; -- End function
	.set Transform_BF16_S_100_16_16_VW_1.num_vgpr, max(42, .L__assert_fail.num_vgpr)
	.set Transform_BF16_S_100_16_16_VW_1.num_agpr, max(0, .L__assert_fail.num_agpr)
	.set Transform_BF16_S_100_16_16_VW_1.numbered_sgpr, max(33, .L__assert_fail.numbered_sgpr)
	.set Transform_BF16_S_100_16_16_VW_1.num_named_barrier, max(0, .L__assert_fail.num_named_barrier)
	.set Transform_BF16_S_100_16_16_VW_1.private_seg_size, 0+max(.L__assert_fail.private_seg_size)
	.set Transform_BF16_S_100_16_16_VW_1.uses_vcc, or(1, .L__assert_fail.uses_vcc)
	.set Transform_BF16_S_100_16_16_VW_1.uses_flat_scratch, or(1, .L__assert_fail.uses_flat_scratch)
	.set Transform_BF16_S_100_16_16_VW_1.has_dyn_sized_stack, or(0, .L__assert_fail.has_dyn_sized_stack)
	.set Transform_BF16_S_100_16_16_VW_1.has_recursion, or(0, .L__assert_fail.has_recursion)
	.set Transform_BF16_S_100_16_16_VW_1.has_indirect_call, or(0, .L__assert_fail.has_indirect_call)
	.section	.AMDGPU.csdata,"",@progbits
; Kernel info:
; codeLenInByte = 756
; TotalNumSgprs: 40
; NumVgprs: 42
; ScratchSize: 64
; MemoryBound: 0
; FloatMode: 240
; IeeeMode: 1
; LDSByteSize: 0 bytes/workgroup (compile time only)
; SGPRBlocks: 4
; VGPRBlocks: 10
; NumSGPRsForWavesPerEU: 40
; NumVGPRsForWavesPerEU: 42
; Occupancy: 5
; WaveLimiterHint : 1
; COMPUTE_PGM_RSRC2:SCRATCH_EN: 1
; COMPUTE_PGM_RSRC2:USER_SGPR: 8
; COMPUTE_PGM_RSRC2:TRAP_HANDLER: 0
; COMPUTE_PGM_RSRC2:TGID_X_EN: 1
; COMPUTE_PGM_RSRC2:TGID_Y_EN: 0
; COMPUTE_PGM_RSRC2:TGID_Z_EN: 1
; COMPUTE_PGM_RSRC2:TIDIG_COMP_CNT: 0
	.text
	.protected	Transform_BF16_S_100_16_16_VW_4 ; -- Begin function Transform_BF16_S_100_16_16_VW_4
	.globl	Transform_BF16_S_100_16_16_VW_4
	.p2align	8
	.type	Transform_BF16_S_100_16_16_VW_4,@function
Transform_BF16_S_100_16_16_VW_4:        ; @Transform_BF16_S_100_16_16_VW_4
; %bb.0:
	s_mov_b64 s[26:27], s[4:5]
	s_load_dword s4, s[6:7], 0x64
	s_add_u32 flat_scratch_lo, s8, s12
	s_addc_u32 flat_scratch_hi, s9, 0
	s_add_u32 s0, s0, s12
	s_addc_u32 s1, s1, 0
	s_waitcnt lgkmcnt(0)
	s_and_b32 s4, s4, 0xffff
	s_mov_b32 s35, s11
	s_mov_b32 s34, s10
	s_mov_b64 s[28:29], s[6:7]
	v_mov_b32_e32 v41, v2
	v_mov_b32_e32 v43, v1
	;; [unrolled: 1-line block ×3, first 2 shown]
	s_cmpk_eq_i32 s4, 0x100
	s_mov_b64 s[4:5], -1
	s_mov_b32 s32, 0
	s_cbranch_scc1 .LBB57_2
; %bb.1:
	s_add_u32 s8, s28, 0x58
	s_addc_u32 s9, s29, 0
	s_getpc_b64 s[4:5]
	s_add_u32 s4, s4, __PRETTY_FUNCTION__._ZN10amd_detail9transformI12hip_bfloat16fLb1ELb0ELb0ELj16ELj16ELj4EEEvPT_PKS2_S5_T0_PKS6_S6_S8_jjjjjjbb@rel32@lo+4
	s_addc_u32 s5, s5, __PRETTY_FUNCTION__._ZN10amd_detail9transformI12hip_bfloat16fLb1ELb0ELb0ELj16ELj16ELj4EEEvPT_PKS2_S5_T0_PKS6_S6_S8_jjjjjjbb@rel32@hi+12
	s_getpc_b64 s[6:7]
	s_add_u32 s6, s6, __assert_fail@rel32@lo+4
	s_addc_u32 s7, s7, __assert_fail@rel32@hi+12
	v_mov_b32_e32 v0, s4
	v_mov_b32_e32 v1, s5
	s_swappc_b64 s[30:31], s[6:7]
	s_mov_b64 s[4:5], 0
	; divergent unreachable
.LBB57_2:
	s_andn2_b64 vcc, exec, s[4:5]
	s_cbranch_vccnz .LBB57_70
; %bb.3:
	s_load_dwordx8 s[12:19], s[28:29], 0x38
	s_waitcnt lgkmcnt(0)
	s_lshr_b32 s6, s12, 6
	s_and_b32 s4, s12, 63
	s_cmp_lg_u32 s4, 0
	s_cselect_b64 s[4:5], -1, 0
	s_cmp_lg_u64 s[4:5], 0
	s_addc_u32 s6, s6, 0
	v_cvt_f32_u32_e32 v0, s6
	s_load_dword s8, s[28:29], 0x18
	s_load_dwordx2 s[4:5], s[28:29], 0x20
	s_sub_i32 s7, 0, s6
	v_rcp_iflag_f32_e32 v0, v0
	s_waitcnt lgkmcnt(0)
	v_mov_b32_e32 v10, s8
	v_mul_f32_e32 v0, 0x4f7ffffe, v0
	v_cvt_u32_f32_e32 v0, v0
	v_readfirstlane_b32 s9, v0
	s_mul_i32 s7, s7, s9
	s_mul_hi_u32 s7, s9, s7
	s_add_i32 s9, s9, s7
	s_mul_hi_u32 s7, s34, s9
	s_cmp_eq_u64 s[4:5], 0
	s_cbranch_scc1 .LBB57_5
; %bb.4:
	v_mov_b32_e32 v0, 0
	global_load_dword v10, v0, s[4:5]
.LBB57_5:
	s_load_dwordx2 s[4:5], s[28:29], 0x30
	s_load_dword s8, s[28:29], 0x28
	s_waitcnt lgkmcnt(0)
	s_cmp_eq_u64 s[4:5], 0
	v_mov_b32_e32 v12, s8
	s_cbranch_scc1 .LBB57_7
; %bb.6:
	v_mov_b32_e32 v0, 0
	global_load_dword v12, v0, s[4:5]
.LBB57_7:
	s_mul_i32 s4, s7, s6
	s_sub_i32 s4, s34, s4
	s_add_i32 s5, s7, 1
	s_sub_i32 s8, s4, s6
	s_cmp_ge_u32 s4, s6
	s_cselect_b32 s5, s5, s7
	s_cselect_b32 s4, s8, s4
	s_add_i32 s7, s5, 1
	s_cmp_ge_u32 s4, s6
	s_cselect_b32 s4, s7, s5
	v_lshrrev_b32_e32 v0, 4, v42
	v_lshl_add_u32 v0, s4, 4, v0
	v_cmp_gt_u32_e32 vcc, s13, v0
	s_and_saveexec_b64 s[8:9], vcc
	s_cbranch_execz .LBB57_70
; %bb.8:
	s_mul_i32 s13, s4, s6
	v_lshlrev_b32_e32 v1, 2, v42
	s_sub_i32 s4, s34, s13
	v_and_b32_e32 v7, 60, v1
	v_lshl_or_b32 v9, s4, 6, v7
	v_add_u32_e32 v11, 4, v9
	s_load_dwordx4 s[20:23], s[28:29], 0x0
	s_load_dwordx2 s[24:25], s[28:29], 0x10
	v_sub_u32_e64 v8, v11, s12 clamp
	v_sub_u32_e32 v3, v9, v8
	v_mad_u64_u32 v[1:2], s[4:5], v0, s14, v[3:4]
	s_bitcmp1_b32 s18, 0
	s_cselect_b64 vcc, -1, 0
	s_waitcnt lgkmcnt(0)
	s_cmp_lg_u64 s[22:23], 0
	s_mul_i32 s17, s17, s35
	s_cselect_b64 s[10:11], -1, 0
	s_cmp_eq_u64 s[22:23], 0
	v_mov_b32_e32 v13, 0
	v_mov_b32_e32 v14, 0
	s_cbranch_scc1 .LBB57_10
; %bb.9:
	v_mad_u64_u32 v[4:5], s[4:5], v3, s14, v[0:1]
	v_mov_b32_e32 v5, 0
	v_mov_b32_e32 v2, s23
	v_cndmask_b32_e32 v4, v4, v1, vcc
	v_add_u32_e32 v4, s17, v4
	v_lshlrev_b64 v[4:5], 1, v[4:5]
	v_add_co_u32_e64 v4, s[4:5], s22, v4
	v_addc_co_u32_e64 v5, s[4:5], v2, v5, s[4:5]
	global_load_ushort v2, v[4:5], off
	s_waitcnt vmcnt(0)
	v_lshlrev_b32_e32 v14, 16, v2
.LBB57_10:
	s_load_dword s6, s[28:29], 0x50
	s_xor_b64 s[8:9], vcc, -1
	v_mad_u64_u32 v[4:5], s[4:5], v0, s15, v[3:4]
	v_mul_lo_u32 v15, v3, s15
	s_waitcnt lgkmcnt(0)
	s_bitcmp1_b32 s6, 8
	s_cselect_b64 s[6:7], -1, 0
	s_cmp_lg_u64 s[24:25], 0
	s_cselect_b64 s[18:19], -1, 0
	s_cmp_eq_u64 s[24:25], 0
	s_cbranch_scc1 .LBB57_12
; %bb.11:
	v_add_u32_e32 v2, v15, v0
	v_cndmask_b32_e64 v2, v4, v2, s[6:7]
	v_add_u32_e32 v5, s17, v2
	v_mov_b32_e32 v6, 0
	v_lshlrev_b64 v[5:6], 1, v[5:6]
	v_mov_b32_e32 v2, s25
	v_add_co_u32_e32 v5, vcc, s24, v5
	v_addc_co_u32_e32 v6, vcc, v2, v6, vcc
	global_load_ushort v2, v[5:6], off
	s_waitcnt vmcnt(0)
	v_lshlrev_b32_e32 v13, 16, v2
.LBB57_12:
	v_cndmask_b32_e64 v2, 0, 1, s[8:9]
	v_cmp_ne_u32_e64 s[4:5], 1, v2
	s_andn2_b64 vcc, exec, s[8:9]
	s_cbranch_vccnz .LBB57_14
; %bb.13:
	v_mul_lo_u32 v2, s14, v3
	v_add3_u32 v2, v2, s14, v0
	s_xor_b64 s[8:9], s[6:7], -1
	s_cbranch_execz .LBB57_15
	s_branch .LBB57_16
.LBB57_14:
                                        ; implicit-def: $vgpr2
	s_xor_b64 s[8:9], s[6:7], -1
.LBB57_15:
	v_add_u32_e32 v2, 1, v1
.LBB57_16:
	v_cndmask_b32_e64 v5, 0, 1, s[8:9]
	v_cmp_ne_u32_e64 s[6:7], 1, v5
	s_andn2_b64 vcc, exec, s[8:9]
	s_cbranch_vccnz .LBB57_18
; %bb.17:
	v_add_u32_e32 v5, 1, v4
	s_cbranch_execz .LBB57_19
	s_branch .LBB57_20
.LBB57_18:
                                        ; implicit-def: $vgpr5
.LBB57_19:
	v_add3_u32 v5, v15, s15, v0
.LBB57_20:
	v_cndmask_b32_e64 v6, 0, 1, s[10:11]
	v_mov_b32_e32 v17, 0
	v_cmp_ne_u32_e64 s[8:9], 1, v6
	s_andn2_b64 vcc, exec, s[10:11]
	v_mov_b32_e32 v16, 0
	s_cbranch_vccnz .LBB57_22
; %bb.21:
	v_add_u32_e32 v18, s17, v2
	v_mov_b32_e32 v19, 0
	v_lshlrev_b64 v[18:19], 1, v[18:19]
	v_mov_b32_e32 v2, s23
	v_add_co_u32_e32 v18, vcc, s22, v18
	v_addc_co_u32_e32 v19, vcc, v2, v19, vcc
	global_load_ushort v2, v[18:19], off
	s_waitcnt vmcnt(0)
	v_lshlrev_b32_e32 v16, 16, v2
.LBB57_22:
	v_cndmask_b32_e64 v2, 0, 1, s[18:19]
	v_cmp_ne_u32_e64 s[10:11], 1, v2
	s_andn2_b64 vcc, exec, s[18:19]
	s_cbranch_vccnz .LBB57_24
; %bb.23:
	v_add_u32_e32 v5, s17, v5
	v_mov_b32_e32 v6, 0
	v_lshlrev_b64 v[5:6], 1, v[5:6]
	v_mov_b32_e32 v2, s25
	v_add_co_u32_e32 v5, vcc, s24, v5
	v_addc_co_u32_e32 v6, vcc, v2, v6, vcc
	global_load_ushort v2, v[5:6], off
	s_waitcnt vmcnt(0)
	v_lshlrev_b32_e32 v17, 16, v2
.LBB57_24:
	s_and_b64 vcc, exec, s[4:5]
	s_cbranch_vccnz .LBB57_26
; %bb.25:
	v_add_u32_e32 v2, 2, v3
	v_mad_u64_u32 v[5:6], s[18:19], v2, s14, v[0:1]
	s_cbranch_execz .LBB57_27
	s_branch .LBB57_28
.LBB57_26:
                                        ; implicit-def: $vgpr5
.LBB57_27:
	v_add_u32_e32 v5, 2, v1
.LBB57_28:
	s_and_b64 vcc, exec, s[6:7]
	s_cbranch_vccnz .LBB57_30
; %bb.29:
	v_add_u32_e32 v2, 2, v4
	s_cbranch_execz .LBB57_31
	s_branch .LBB57_32
.LBB57_30:
                                        ; implicit-def: $vgpr2
.LBB57_31:
	s_lshl_b32 s18, s15, 1
	v_add3_u32 v2, v15, s18, v0
.LBB57_32:
	v_mov_b32_e32 v18, 0
	s_and_b64 vcc, exec, s[8:9]
	v_mov_b32_e32 v6, 0
	s_cbranch_vccnz .LBB57_34
; %bb.33:
	v_add_u32_e32 v5, s17, v5
	v_mov_b32_e32 v6, 0
	v_lshlrev_b64 v[5:6], 1, v[5:6]
	v_mov_b32_e32 v19, s23
	v_add_co_u32_e32 v5, vcc, s22, v5
	v_addc_co_u32_e32 v6, vcc, v19, v6, vcc
	global_load_ushort v5, v[5:6], off
	s_waitcnt vmcnt(0)
	v_lshlrev_b32_e32 v6, 16, v5
.LBB57_34:
	s_and_b64 vcc, exec, s[10:11]
	s_cbranch_vccnz .LBB57_36
; %bb.35:
	v_add_u32_e32 v18, s17, v2
	v_mov_b32_e32 v19, 0
	v_lshlrev_b64 v[18:19], 1, v[18:19]
	v_mov_b32_e32 v2, s25
	v_add_co_u32_e32 v18, vcc, s24, v18
	v_addc_co_u32_e32 v19, vcc, v2, v19, vcc
	global_load_ushort v2, v[18:19], off
	s_waitcnt vmcnt(0)
	v_lshlrev_b32_e32 v18, 16, v2
.LBB57_36:
	s_and_b64 vcc, exec, s[4:5]
	s_cbranch_vccnz .LBB57_38
; %bb.37:
	v_add_u32_e32 v2, 3, v3
	v_mad_u64_u32 v[2:3], s[4:5], v2, s14, v[0:1]
	s_cbranch_execz .LBB57_39
	s_branch .LBB57_40
.LBB57_38:
                                        ; implicit-def: $vgpr2
.LBB57_39:
	v_add_u32_e32 v2, 3, v1
.LBB57_40:
	s_and_b64 vcc, exec, s[6:7]
	s_cbranch_vccnz .LBB57_42
; %bb.41:
	v_add_u32_e32 v1, 3, v4
	s_cbranch_execz .LBB57_43
	s_branch .LBB57_44
.LBB57_42:
                                        ; implicit-def: $vgpr1
.LBB57_43:
	s_mul_i32 s4, s15, 3
	v_add3_u32 v1, v15, s4, v0
.LBB57_44:
	v_mov_b32_e32 v4, 0
	s_and_b64 vcc, exec, s[8:9]
	v_mov_b32_e32 v3, 0
	s_cbranch_vccnz .LBB57_46
; %bb.45:
	v_add_u32_e32 v2, s17, v2
	v_mov_b32_e32 v3, 0
	v_lshlrev_b64 v[2:3], 1, v[2:3]
	v_mov_b32_e32 v5, s23
	v_add_co_u32_e32 v2, vcc, s22, v2
	v_addc_co_u32_e32 v3, vcc, v5, v3, vcc
	global_load_ushort v2, v[2:3], off
	s_waitcnt vmcnt(0)
	v_lshlrev_b32_e32 v3, 16, v2
.LBB57_46:
	s_and_b64 vcc, exec, s[10:11]
	s_cbranch_vccnz .LBB57_48
; %bb.47:
	v_add_u32_e32 v1, s17, v1
	v_mov_b32_e32 v2, 0
	v_lshlrev_b64 v[1:2], 1, v[1:2]
	v_mov_b32_e32 v4, s25
	v_add_co_u32_e32 v1, vcc, s24, v1
	v_addc_co_u32_e32 v2, vcc, v4, v2, vcc
	global_load_ushort v1, v[1:2], off
	s_waitcnt vmcnt(0)
	v_lshlrev_b32_e32 v4, 16, v1
.LBB57_48:
	s_waitcnt vmcnt(0)
	v_mul_f32_e32 v1, v12, v13
	v_fmac_f32_e32 v1, v10, v14
	s_mov_b32 s4, 0x7f800000
	v_and_b32_e32 v2, 0x7f800000, v1
	v_cmp_ne_u32_e32 vcc, s4, v2
                                        ; implicit-def: $vgpr2
	s_and_saveexec_b64 s[4:5], vcc
	s_xor_b64 s[4:5], exec, s[4:5]
; %bb.49:
	v_bfe_u32 v2, v1, 16, 1
	s_movk_i32 s6, 0x7fff
	v_add3_u32 v2, v1, v2, s6
                                        ; implicit-def: $vgpr1
; %bb.50:
	s_andn2_saveexec_b64 s[4:5], s[4:5]
; %bb.51:
	v_mov_b32_e32 v2, 0
	v_or_b32_e32 v5, 0x10000, v1
	v_cmp_eq_u32_sdwa vcc, v1, v2 src0_sel:WORD_0 src1_sel:DWORD
	v_cndmask_b32_e32 v2, v5, v1, vcc
; %bb.52:
	s_or_b64 exec, exec, s[4:5]
	s_load_dwordx2 s[4:5], s[26:27], 0x4
	v_mul_f32_e32 v5, v12, v17
	v_fmac_f32_e32 v5, v10, v16
	v_and_b32_e32 v14, 0x7f800000, v5
	v_lshrrev_b32_e32 v2, 16, v2
	s_waitcnt lgkmcnt(0)
	s_lshr_b32 s4, s4, 16
	s_mul_i32 s4, s4, s5
	v_mul_lo_u32 v1, s4, v42
	s_mov_b32 s4, 0x7f800000
	v_cmp_ne_u32_e32 vcc, s4, v14
                                        ; implicit-def: $vgpr14
	v_mad_u32_u24 v13, v43, s5, v1
	v_add_lshl_u32 v13, v13, v41, 3
	ds_write_b16 v13, v2
	s_and_saveexec_b64 s[6:7], vcc
	s_xor_b64 s[6:7], exec, s[6:7]
; %bb.53:
	v_bfe_u32 v14, v5, 16, 1
	s_movk_i32 s4, 0x7fff
	v_add3_u32 v14, v5, v14, s4
                                        ; implicit-def: $vgpr5
; %bb.54:
	s_andn2_saveexec_b64 s[6:7], s[6:7]
; %bb.55:
	v_mov_b32_e32 v14, 0
	v_or_b32_e32 v15, 0x10000, v5
	v_cmp_eq_u32_sdwa vcc, v5, v14 src0_sel:WORD_0 src1_sel:DWORD
	v_cndmask_b32_e32 v14, v15, v5, vcc
; %bb.56:
	s_or_b64 exec, exec, s[6:7]
	v_lshrrev_b32_e32 v5, 16, v14
	v_mul_f32_e32 v14, v12, v18
	v_fmac_f32_e32 v14, v10, v6
	s_mov_b32 s4, 0x7f800000
	v_and_b32_e32 v6, 0x7f800000, v14
	v_cmp_ne_u32_e32 vcc, s4, v6
	ds_write_b16 v13, v5 offset:2
                                        ; implicit-def: $vgpr6
	s_and_saveexec_b64 s[6:7], vcc
	s_xor_b64 s[6:7], exec, s[6:7]
; %bb.57:
	v_bfe_u32 v6, v14, 16, 1
	s_movk_i32 s4, 0x7fff
	v_add3_u32 v6, v14, v6, s4
                                        ; implicit-def: $vgpr14
; %bb.58:
	s_andn2_saveexec_b64 s[6:7], s[6:7]
; %bb.59:
	v_mov_b32_e32 v6, 0
	v_or_b32_e32 v15, 0x10000, v14
	v_cmp_eq_u32_sdwa vcc, v14, v6 src0_sel:WORD_0 src1_sel:DWORD
	v_cndmask_b32_e32 v6, v15, v14, vcc
; %bb.60:
	s_or_b64 exec, exec, s[6:7]
	v_mul_f32_e32 v4, v12, v4
	v_fmac_f32_e32 v4, v10, v3
	s_mov_b32 s4, 0x7f800000
	v_and_b32_e32 v3, 0x7f800000, v4
	v_lshrrev_b32_e32 v6, 16, v6
	v_cmp_ne_u32_e32 vcc, s4, v3
	ds_write_b16 v13, v6 offset:4
                                        ; implicit-def: $vgpr10
	s_and_saveexec_b64 s[6:7], vcc
	s_xor_b64 s[6:7], exec, s[6:7]
; %bb.61:
	v_bfe_u32 v3, v4, 16, 1
	s_movk_i32 s4, 0x7fff
	v_add3_u32 v10, v4, v3, s4
                                        ; implicit-def: $vgpr4
; %bb.62:
	s_andn2_saveexec_b64 s[6:7], s[6:7]
; %bb.63:
	v_mov_b32_e32 v3, 0
	v_or_b32_e32 v10, 0x10000, v4
	v_cmp_eq_u32_sdwa vcc, v4, v3 src0_sel:WORD_0 src1_sel:DWORD
	v_cndmask_b32_e32 v10, v10, v4, vcc
; %bb.64:
	s_or_b64 exec, exec, s[6:7]
	v_mul_lo_u32 v3, v0, s16
	v_lshrrev_b32_e32 v0, 16, v10
	v_cmp_ge_u32_e32 vcc, s12, v11
	ds_write_b16 v13, v0 offset:6
	s_and_saveexec_b64 s[6:7], vcc
	s_xor_b64 s[6:7], exec, s[6:7]
	s_cbranch_execz .LBB57_66
; %bb.65:
	v_add_u32_e32 v1, s17, v9
	v_sub_u32_e32 v1, v1, v8
	v_add_u32_e32 v3, v1, v3
	v_mov_b32_e32 v4, 0
	v_lshlrev_b64 v[7:8], 1, v[3:4]
	v_mov_b32_e32 v1, s21
	v_add_co_u32_e32 v7, vcc, s20, v7
	v_addc_co_u32_e32 v8, vcc, v1, v8, vcc
	global_store_short v[7:8], v2, off
	v_add_u32_e32 v1, 1, v3
	v_mov_b32_e32 v2, v4
	v_lshlrev_b64 v[1:2], 1, v[1:2]
	v_mov_b32_e32 v7, s21
	v_add_co_u32_e32 v1, vcc, s20, v1
	v_addc_co_u32_e32 v2, vcc, v7, v2, vcc
	global_store_short v[1:2], v5, off
	v_add_u32_e32 v1, 2, v3
	v_mov_b32_e32 v2, v4
	v_lshlrev_b64 v[1:2], 1, v[1:2]
	v_mov_b32_e32 v5, s21
	v_add_co_u32_e32 v1, vcc, s20, v1
	v_addc_co_u32_e32 v2, vcc, v5, v2, vcc
	v_add_u32_e32 v3, 3, v3
	global_store_short v[1:2], v6, off
	v_lshlrev_b64 v[1:2], 1, v[3:4]
	v_mov_b32_e32 v3, s21
	v_add_co_u32_e32 v1, vcc, s20, v1
	v_addc_co_u32_e32 v2, vcc, v3, v2, vcc
	global_store_short v[1:2], v0, off
                                        ; implicit-def: $vgpr8
                                        ; implicit-def: $vgpr43
                                        ; implicit-def: $vgpr7
                                        ; implicit-def: $vgpr3
                                        ; implicit-def: $vgpr41
                                        ; implicit-def: $vgpr1
                                        ; implicit-def: $vgpr42
.LBB57_66:
	s_andn2_saveexec_b64 s[6:7], s[6:7]
	s_cbranch_execz .LBB57_70
; %bb.67:
	v_cmp_gt_u32_e32 vcc, 4, v8
	s_and_b64 exec, exec, vcc
	s_cbranch_execz .LBB57_70
; %bb.68:
	v_mul_u32_u24_e32 v4, s5, v43
	v_lshl_or_b32 v0, s34, 6, v7
	s_lshl_b32 s4, s13, 6
	v_subrev_u32_e32 v2, s4, v0
	v_add3_u32 v0, s17, v3, v0
	v_add3_u32 v1, v4, v41, v1
	v_and_b32_e32 v3, 15, v42
	v_add_u32_e32 v5, 4, v2
	v_add_lshl_u32 v1, v1, v3, 3
	v_min_u32_e32 v5, s12, v5
	v_subrev_u32_e32 v0, s4, v0
	v_lshl_add_u32 v1, s34, 7, v1
	s_lshl_b32 s4, s13, 7
	v_subrev_u32_e32 v1, s4, v1
	v_lshlrev_b32_e32 v3, 1, v5
	v_sub_u32_e32 v2, v2, v5
	v_sub_u32_e32 v1, v1, v3
	v_add_u32_e32 v2, 3, v2
	v_add_u32_e32 v3, 8, v1
	s_mov_b64 s[6:7], 0
	v_mov_b32_e32 v1, 0
	v_mov_b32_e32 v4, s21
.LBB57_69:                              ; =>This Inner Loop Header: Depth=1
	ds_read_u16 v7, v3
	v_lshlrev_b64 v[5:6], 1, v[0:1]
	v_add_u32_e32 v2, 1, v2
	v_cmp_lt_u32_e32 vcc, 2, v2
	v_add_co_u32_e64 v5, s[4:5], s20, v5
	v_add_u32_e32 v0, 1, v0
	v_add_u32_e32 v3, 2, v3
	v_addc_co_u32_e64 v6, s[4:5], v4, v6, s[4:5]
	s_or_b64 s[6:7], vcc, s[6:7]
	s_waitcnt lgkmcnt(0)
	global_store_short v[5:6], v7, off
	s_andn2_b64 exec, exec, s[6:7]
	s_cbranch_execnz .LBB57_69
.LBB57_70:
	s_endpgm
	.section	.rodata,"a",@progbits
	.p2align	6, 0x0
	.amdhsa_kernel Transform_BF16_S_100_16_16_VW_4
		.amdhsa_group_segment_fixed_size 8192
		.amdhsa_private_segment_fixed_size 64
		.amdhsa_kernarg_size 344
		.amdhsa_user_sgpr_count 10
		.amdhsa_user_sgpr_private_segment_buffer 1
		.amdhsa_user_sgpr_dispatch_ptr 1
		.amdhsa_user_sgpr_queue_ptr 0
		.amdhsa_user_sgpr_kernarg_segment_ptr 1
		.amdhsa_user_sgpr_dispatch_id 0
		.amdhsa_user_sgpr_flat_scratch_init 1
		.amdhsa_user_sgpr_private_segment_size 0
		.amdhsa_uses_dynamic_stack 0
		.amdhsa_system_sgpr_private_segment_wavefront_offset 1
		.amdhsa_system_sgpr_workgroup_id_x 1
		.amdhsa_system_sgpr_workgroup_id_y 0
		.amdhsa_system_sgpr_workgroup_id_z 1
		.amdhsa_system_sgpr_workgroup_info 0
		.amdhsa_system_vgpr_workitem_id 2
		.amdhsa_next_free_vgpr 44
		.amdhsa_next_free_sgpr 36
		.amdhsa_reserve_vcc 1
		.amdhsa_reserve_flat_scratch 1
		.amdhsa_float_round_mode_32 0
		.amdhsa_float_round_mode_16_64 0
		.amdhsa_float_denorm_mode_32 3
		.amdhsa_float_denorm_mode_16_64 3
		.amdhsa_dx10_clamp 1
		.amdhsa_ieee_mode 1
		.amdhsa_fp16_overflow 0
		.amdhsa_exception_fp_ieee_invalid_op 0
		.amdhsa_exception_fp_denorm_src 0
		.amdhsa_exception_fp_ieee_div_zero 0
		.amdhsa_exception_fp_ieee_overflow 0
		.amdhsa_exception_fp_ieee_underflow 0
		.amdhsa_exception_fp_ieee_inexact 0
		.amdhsa_exception_int_div_zero 0
	.end_amdhsa_kernel
	.text
.Lfunc_end57:
	.size	Transform_BF16_S_100_16_16_VW_4, .Lfunc_end57-Transform_BF16_S_100_16_16_VW_4
                                        ; -- End function
	.set Transform_BF16_S_100_16_16_VW_4.num_vgpr, max(44, .L__assert_fail.num_vgpr)
	.set Transform_BF16_S_100_16_16_VW_4.num_agpr, max(0, .L__assert_fail.num_agpr)
	.set Transform_BF16_S_100_16_16_VW_4.numbered_sgpr, max(36, .L__assert_fail.numbered_sgpr)
	.set Transform_BF16_S_100_16_16_VW_4.num_named_barrier, max(0, .L__assert_fail.num_named_barrier)
	.set Transform_BF16_S_100_16_16_VW_4.private_seg_size, 0+max(.L__assert_fail.private_seg_size)
	.set Transform_BF16_S_100_16_16_VW_4.uses_vcc, or(1, .L__assert_fail.uses_vcc)
	.set Transform_BF16_S_100_16_16_VW_4.uses_flat_scratch, or(1, .L__assert_fail.uses_flat_scratch)
	.set Transform_BF16_S_100_16_16_VW_4.has_dyn_sized_stack, or(0, .L__assert_fail.has_dyn_sized_stack)
	.set Transform_BF16_S_100_16_16_VW_4.has_recursion, or(0, .L__assert_fail.has_recursion)
	.set Transform_BF16_S_100_16_16_VW_4.has_indirect_call, or(0, .L__assert_fail.has_indirect_call)
	.section	.AMDGPU.csdata,"",@progbits
; Kernel info:
; codeLenInByte = 2092
; TotalNumSgprs: 42
; NumVgprs: 44
; ScratchSize: 64
; MemoryBound: 0
; FloatMode: 240
; IeeeMode: 1
; LDSByteSize: 8192 bytes/workgroup (compile time only)
; SGPRBlocks: 5
; VGPRBlocks: 10
; NumSGPRsForWavesPerEU: 42
; NumVGPRsForWavesPerEU: 44
; Occupancy: 5
; WaveLimiterHint : 1
; COMPUTE_PGM_RSRC2:SCRATCH_EN: 1
; COMPUTE_PGM_RSRC2:USER_SGPR: 10
; COMPUTE_PGM_RSRC2:TRAP_HANDLER: 0
; COMPUTE_PGM_RSRC2:TGID_X_EN: 1
; COMPUTE_PGM_RSRC2:TGID_Y_EN: 0
; COMPUTE_PGM_RSRC2:TGID_Z_EN: 1
; COMPUTE_PGM_RSRC2:TIDIG_COMP_CNT: 2
	.text
	.protected	Transform_BF16_S_011_16_16_VW_1 ; -- Begin function Transform_BF16_S_011_16_16_VW_1
	.globl	Transform_BF16_S_011_16_16_VW_1
	.p2align	8
	.type	Transform_BF16_S_011_16_16_VW_1,@function
Transform_BF16_S_011_16_16_VW_1:        ; @Transform_BF16_S_011_16_16_VW_1
; %bb.0:
	s_mov_b64 s[26:27], s[4:5]
	s_load_dword s4, s[4:5], 0x64
	s_add_u32 flat_scratch_lo, s6, s10
	s_addc_u32 flat_scratch_hi, s7, 0
	s_add_u32 s0, s0, s10
	s_addc_u32 s1, s1, 0
	s_waitcnt lgkmcnt(0)
	s_and_b32 s4, s4, 0xffff
	s_mov_b32 s28, s9
	s_mov_b32 s29, s8
	v_mov_b32_e32 v41, v0
	s_cmpk_eq_i32 s4, 0x100
	s_mov_b64 s[4:5], -1
	s_mov_b32 s32, 0
	s_cbranch_scc1 .LBB58_2
; %bb.1:
	s_add_u32 s8, s26, 0x58
	s_addc_u32 s9, s27, 0
	s_getpc_b64 s[4:5]
	s_add_u32 s4, s4, __PRETTY_FUNCTION__._ZN10amd_detail9transformI12hip_bfloat16fLb0ELb1ELb1ELj16ELj16ELj1EEEvPT_PKS2_S5_T0_PKS6_S6_S8_jjjjjjbb@rel32@lo+4
	s_addc_u32 s5, s5, __PRETTY_FUNCTION__._ZN10amd_detail9transformI12hip_bfloat16fLb0ELb1ELb1ELj16ELj16ELj1EEEvPT_PKS2_S5_T0_PKS6_S6_S8_jjjjjjbb@rel32@hi+12
	s_getpc_b64 s[6:7]
	s_add_u32 s6, s6, __assert_fail@rel32@lo+4
	s_addc_u32 s7, s7, __assert_fail@rel32@hi+12
	v_mov_b32_e32 v0, s4
	v_mov_b32_e32 v1, s5
	s_swappc_b64 s[30:31], s[6:7]
	s_mov_b64 s[4:5], 0
	; divergent unreachable
.LBB58_2:
	s_andn2_b64 vcc, exec, s[4:5]
	s_cbranch_vccnz .LBB58_17
; %bb.3:
	s_load_dwordx8 s[4:11], s[26:27], 0x38
	s_waitcnt lgkmcnt(0)
	s_lshr_b32 s11, s4, 4
	s_and_b32 s12, s4, 15
	s_cmp_lg_u32 s12, 0
	s_cselect_b64 s[12:13], -1, 0
	s_cmp_lg_u64 s[12:13], 0
	s_addc_u32 s11, s11, 0
	v_cvt_f32_u32_e32 v0, s11
	s_load_dword s15, s[26:27], 0x18
	s_load_dwordx2 s[12:13], s[26:27], 0x20
	s_sub_i32 s14, 0, s11
	v_rcp_iflag_f32_e32 v0, v0
	s_waitcnt lgkmcnt(0)
	v_mov_b32_e32 v2, s15
	v_mul_f32_e32 v0, 0x4f7ffffe, v0
	v_cvt_u32_f32_e32 v0, v0
	v_readfirstlane_b32 s16, v0
	s_mul_i32 s14, s14, s16
	s_mul_hi_u32 s14, s16, s14
	s_add_i32 s16, s16, s14
	s_mul_hi_u32 s14, s29, s16
	s_cmp_eq_u64 s[12:13], 0
	s_cbranch_scc1 .LBB58_5
; %bb.4:
	v_mov_b32_e32 v0, 0
	global_load_dword v2, v0, s[12:13]
.LBB58_5:
	s_load_dwordx2 s[12:13], s[26:27], 0x30
	s_load_dword s15, s[26:27], 0x28
	s_waitcnt lgkmcnt(0)
	s_cmp_eq_u64 s[12:13], 0
	v_mov_b32_e32 v3, s15
	s_cbranch_scc1 .LBB58_7
; %bb.6:
	v_mov_b32_e32 v0, 0
	global_load_dword v3, v0, s[12:13]
.LBB58_7:
	s_mul_i32 s12, s14, s11
	s_sub_i32 s12, s29, s12
	s_add_i32 s13, s14, 1
	s_sub_i32 s15, s12, s11
	s_cmp_ge_u32 s12, s11
	s_cselect_b32 s13, s13, s14
	s_cselect_b32 s12, s15, s12
	s_add_i32 s14, s13, 1
	s_cmp_ge_u32 s12, s11
	s_cselect_b32 s12, s14, s13
	s_mul_i32 s11, s12, s11
	s_sub_i32 s11, s29, s11
	v_and_b32_e32 v0, 15, v41
	v_lshrrev_b32_e32 v4, 4, v41
	v_lshl_or_b32 v1, s11, 4, v0
	v_lshl_add_u32 v0, s12, 4, v4
	v_cmp_gt_u32_e32 vcc, s4, v1
	v_cmp_gt_u32_e64 s[4:5], s5, v0
	s_and_b64 s[4:5], vcc, s[4:5]
	s_and_saveexec_b64 s[12:13], s[4:5]
	s_cbranch_execz .LBB58_17
; %bb.8:
	s_load_dwordx4 s[12:15], s[26:27], 0x0
	s_load_dwordx2 s[4:5], s[26:27], 0x10
	s_mul_i32 s9, s9, s28
	v_mov_b32_e32 v5, 0
	v_mov_b32_e32 v4, 0
	s_waitcnt lgkmcnt(0)
	s_cmp_eq_u64 s[14:15], 0
	s_cbranch_scc1 .LBB58_10
; %bb.9:
	s_bitcmp1_b32 s10, 0
	s_cselect_b64 vcc, -1, 0
	v_cndmask_b32_e32 v4, v0, v1, vcc
	v_mul_lo_u32 v4, v4, s6
	v_cndmask_b32_e32 v6, v1, v0, vcc
	v_mov_b32_e32 v7, 0
	v_add3_u32 v6, v6, s9, v4
	v_lshlrev_b64 v[6:7], 1, v[6:7]
	v_mov_b32_e32 v4, s15
	v_add_co_u32_e32 v6, vcc, s14, v6
	v_addc_co_u32_e32 v7, vcc, v4, v7, vcc
	global_load_ushort v4, v[6:7], off
	s_waitcnt vmcnt(0)
	v_lshlrev_b32_e32 v4, 16, v4
.LBB58_10:
	s_cmp_eq_u64 s[4:5], 0
	s_cbranch_scc1 .LBB58_12
; %bb.11:
	s_load_dword s6, s[26:27], 0x50
	v_mov_b32_e32 v6, 0
	v_mov_b32_e32 v7, s5
	s_waitcnt lgkmcnt(0)
	s_bitcmp1_b32 s6, 8
	s_cselect_b64 vcc, -1, 0
	v_cndmask_b32_e32 v5, v1, v0, vcc
	v_mul_lo_u32 v5, v5, s7
	v_cndmask_b32_e32 v8, v0, v1, vcc
	v_add3_u32 v5, v8, s9, v5
	v_lshlrev_b64 v[5:6], 1, v[5:6]
	v_add_co_u32_e32 v5, vcc, s4, v5
	v_addc_co_u32_e32 v6, vcc, v7, v6, vcc
	global_load_ushort v5, v[5:6], off
	s_waitcnt vmcnt(0)
	v_lshlrev_b32_e32 v5, 16, v5
.LBB58_12:
	s_waitcnt vmcnt(0)
	v_mul_f32_e32 v3, v3, v5
	v_fmac_f32_e32 v3, v2, v4
	s_mov_b32 s4, 0x7f800000
	v_and_b32_e32 v2, 0x7f800000, v3
	v_cmp_ne_u32_e32 vcc, s4, v2
                                        ; implicit-def: $vgpr2
	s_and_saveexec_b64 s[4:5], vcc
	s_xor_b64 s[4:5], exec, s[4:5]
; %bb.13:
	v_bfe_u32 v2, v3, 16, 1
	s_movk_i32 s6, 0x7fff
	v_add3_u32 v2, v3, v2, s6
                                        ; implicit-def: $vgpr3
; %bb.14:
	s_andn2_saveexec_b64 s[4:5], s[4:5]
; %bb.15:
	v_mov_b32_e32 v2, 0
	v_or_b32_e32 v4, 0x10000, v3
	v_cmp_eq_u32_sdwa vcc, v3, v2 src0_sel:WORD_0 src1_sel:DWORD
	v_cndmask_b32_e32 v2, v4, v3, vcc
; %bb.16:
	s_or_b64 exec, exec, s[4:5]
	v_mul_lo_u32 v3, v1, s8
	v_mov_b32_e32 v1, 0
	v_mov_b32_e32 v4, s13
	v_add3_u32 v0, v0, s9, v3
	v_lshlrev_b64 v[0:1], 1, v[0:1]
	v_add_co_u32_e32 v0, vcc, s12, v0
	v_addc_co_u32_e32 v1, vcc, v4, v1, vcc
	global_store_short_d16_hi v[0:1], v2, off
.LBB58_17:
	s_endpgm
	.section	.rodata,"a",@progbits
	.p2align	6, 0x0
	.amdhsa_kernel Transform_BF16_S_011_16_16_VW_1
		.amdhsa_group_segment_fixed_size 0
		.amdhsa_private_segment_fixed_size 64
		.amdhsa_kernarg_size 344
		.amdhsa_user_sgpr_count 8
		.amdhsa_user_sgpr_private_segment_buffer 1
		.amdhsa_user_sgpr_dispatch_ptr 0
		.amdhsa_user_sgpr_queue_ptr 0
		.amdhsa_user_sgpr_kernarg_segment_ptr 1
		.amdhsa_user_sgpr_dispatch_id 0
		.amdhsa_user_sgpr_flat_scratch_init 1
		.amdhsa_user_sgpr_private_segment_size 0
		.amdhsa_uses_dynamic_stack 0
		.amdhsa_system_sgpr_private_segment_wavefront_offset 1
		.amdhsa_system_sgpr_workgroup_id_x 1
		.amdhsa_system_sgpr_workgroup_id_y 0
		.amdhsa_system_sgpr_workgroup_id_z 1
		.amdhsa_system_sgpr_workgroup_info 0
		.amdhsa_system_vgpr_workitem_id 0
		.amdhsa_next_free_vgpr 42
		.amdhsa_next_free_sgpr 34
		.amdhsa_reserve_vcc 1
		.amdhsa_reserve_flat_scratch 1
		.amdhsa_float_round_mode_32 0
		.amdhsa_float_round_mode_16_64 0
		.amdhsa_float_denorm_mode_32 3
		.amdhsa_float_denorm_mode_16_64 3
		.amdhsa_dx10_clamp 1
		.amdhsa_ieee_mode 1
		.amdhsa_fp16_overflow 0
		.amdhsa_exception_fp_ieee_invalid_op 0
		.amdhsa_exception_fp_denorm_src 0
		.amdhsa_exception_fp_ieee_div_zero 0
		.amdhsa_exception_fp_ieee_overflow 0
		.amdhsa_exception_fp_ieee_underflow 0
		.amdhsa_exception_fp_ieee_inexact 0
		.amdhsa_exception_int_div_zero 0
	.end_amdhsa_kernel
	.text
.Lfunc_end58:
	.size	Transform_BF16_S_011_16_16_VW_1, .Lfunc_end58-Transform_BF16_S_011_16_16_VW_1
                                        ; -- End function
	.set Transform_BF16_S_011_16_16_VW_1.num_vgpr, max(42, .L__assert_fail.num_vgpr)
	.set Transform_BF16_S_011_16_16_VW_1.num_agpr, max(0, .L__assert_fail.num_agpr)
	.set Transform_BF16_S_011_16_16_VW_1.numbered_sgpr, max(33, .L__assert_fail.numbered_sgpr)
	.set Transform_BF16_S_011_16_16_VW_1.num_named_barrier, max(0, .L__assert_fail.num_named_barrier)
	.set Transform_BF16_S_011_16_16_VW_1.private_seg_size, 0+max(.L__assert_fail.private_seg_size)
	.set Transform_BF16_S_011_16_16_VW_1.uses_vcc, or(1, .L__assert_fail.uses_vcc)
	.set Transform_BF16_S_011_16_16_VW_1.uses_flat_scratch, or(1, .L__assert_fail.uses_flat_scratch)
	.set Transform_BF16_S_011_16_16_VW_1.has_dyn_sized_stack, or(0, .L__assert_fail.has_dyn_sized_stack)
	.set Transform_BF16_S_011_16_16_VW_1.has_recursion, or(0, .L__assert_fail.has_recursion)
	.set Transform_BF16_S_011_16_16_VW_1.has_indirect_call, or(0, .L__assert_fail.has_indirect_call)
	.section	.AMDGPU.csdata,"",@progbits
; Kernel info:
; codeLenInByte = 756
; TotalNumSgprs: 40
; NumVgprs: 42
; ScratchSize: 64
; MemoryBound: 0
; FloatMode: 240
; IeeeMode: 1
; LDSByteSize: 0 bytes/workgroup (compile time only)
; SGPRBlocks: 4
; VGPRBlocks: 10
; NumSGPRsForWavesPerEU: 40
; NumVGPRsForWavesPerEU: 42
; Occupancy: 5
; WaveLimiterHint : 1
; COMPUTE_PGM_RSRC2:SCRATCH_EN: 1
; COMPUTE_PGM_RSRC2:USER_SGPR: 8
; COMPUTE_PGM_RSRC2:TRAP_HANDLER: 0
; COMPUTE_PGM_RSRC2:TGID_X_EN: 1
; COMPUTE_PGM_RSRC2:TGID_Y_EN: 0
; COMPUTE_PGM_RSRC2:TGID_Z_EN: 1
; COMPUTE_PGM_RSRC2:TIDIG_COMP_CNT: 0
	.text
	.protected	Transform_BF16_S_011_16_16_VW_4 ; -- Begin function Transform_BF16_S_011_16_16_VW_4
	.globl	Transform_BF16_S_011_16_16_VW_4
	.p2align	8
	.type	Transform_BF16_S_011_16_16_VW_4,@function
Transform_BF16_S_011_16_16_VW_4:        ; @Transform_BF16_S_011_16_16_VW_4
; %bb.0:
	s_mov_b64 s[26:27], s[4:5]
	s_load_dword s4, s[6:7], 0x64
	s_add_u32 flat_scratch_lo, s8, s12
	s_addc_u32 flat_scratch_hi, s9, 0
	s_add_u32 s0, s0, s12
	s_addc_u32 s1, s1, 0
	s_waitcnt lgkmcnt(0)
	s_and_b32 s4, s4, 0xffff
	s_mov_b32 s35, s11
	s_mov_b32 s34, s10
	s_mov_b64 s[28:29], s[6:7]
	v_mov_b32_e32 v41, v2
	v_mov_b32_e32 v43, v1
	;; [unrolled: 1-line block ×3, first 2 shown]
	s_cmpk_eq_i32 s4, 0x100
	s_mov_b64 s[4:5], -1
	s_mov_b32 s32, 0
	s_cbranch_scc1 .LBB59_2
; %bb.1:
	s_add_u32 s8, s28, 0x58
	s_addc_u32 s9, s29, 0
	s_getpc_b64 s[4:5]
	s_add_u32 s4, s4, __PRETTY_FUNCTION__._ZN10amd_detail9transformI12hip_bfloat16fLb0ELb1ELb1ELj16ELj16ELj4EEEvPT_PKS2_S5_T0_PKS6_S6_S8_jjjjjjbb@rel32@lo+4
	s_addc_u32 s5, s5, __PRETTY_FUNCTION__._ZN10amd_detail9transformI12hip_bfloat16fLb0ELb1ELb1ELj16ELj16ELj4EEEvPT_PKS2_S5_T0_PKS6_S6_S8_jjjjjjbb@rel32@hi+12
	s_getpc_b64 s[6:7]
	s_add_u32 s6, s6, __assert_fail@rel32@lo+4
	s_addc_u32 s7, s7, __assert_fail@rel32@hi+12
	v_mov_b32_e32 v0, s4
	v_mov_b32_e32 v1, s5
	s_swappc_b64 s[30:31], s[6:7]
	s_mov_b64 s[4:5], 0
	; divergent unreachable
.LBB59_2:
	s_andn2_b64 vcc, exec, s[4:5]
	s_cbranch_vccnz .LBB59_70
; %bb.3:
	s_load_dwordx4 s[12:15], s[28:29], 0x38
	s_waitcnt lgkmcnt(0)
	s_lshr_b32 s6, s12, 4
	s_and_b32 s4, s12, 15
	s_cmp_lg_u32 s4, 0
	s_cselect_b64 s[4:5], -1, 0
	s_cmp_lg_u64 s[4:5], 0
	s_addc_u32 s6, s6, 0
	v_cvt_f32_u32_e32 v0, s6
	s_load_dword s8, s[28:29], 0x18
	s_load_dwordx2 s[4:5], s[28:29], 0x20
	s_sub_i32 s7, 0, s6
	v_rcp_iflag_f32_e32 v0, v0
	s_waitcnt lgkmcnt(0)
	v_mov_b32_e32 v12, s8
	v_mul_f32_e32 v0, 0x4f7ffffe, v0
	v_cvt_u32_f32_e32 v0, v0
	v_readfirstlane_b32 s9, v0
	s_mul_i32 s7, s7, s9
	s_mul_hi_u32 s7, s9, s7
	s_add_i32 s9, s9, s7
	s_mul_hi_u32 s7, s34, s9
	s_cmp_eq_u64 s[4:5], 0
	s_cbranch_scc1 .LBB59_5
; %bb.4:
	v_mov_b32_e32 v0, 0
	global_load_dword v12, v0, s[4:5]
.LBB59_5:
	s_load_dwordx2 s[4:5], s[28:29], 0x30
	s_load_dword s8, s[28:29], 0x28
	s_waitcnt lgkmcnt(0)
	s_cmp_eq_u64 s[4:5], 0
	v_mov_b32_e32 v13, s8
	s_cbranch_scc1 .LBB59_7
; %bb.6:
	v_mov_b32_e32 v0, 0
	global_load_dword v13, v0, s[4:5]
.LBB59_7:
	s_mul_i32 s4, s7, s6
	s_sub_i32 s4, s34, s4
	s_add_i32 s5, s7, 1
	s_sub_i32 s8, s4, s6
	s_cmp_ge_u32 s4, s6
	s_cselect_b32 s5, s5, s7
	s_cselect_b32 s4, s8, s4
	s_add_i32 s7, s5, 1
	s_cmp_ge_u32 s4, s6
	s_cselect_b32 s30, s7, s5
	s_mul_i32 s31, s30, s6
	s_sub_i32 s4, s34, s31
	v_and_b32_e32 v7, 15, v42
	v_lshl_or_b32 v0, s4, 4, v7
	v_cmp_gt_u32_e32 vcc, s12, v0
	s_and_saveexec_b64 s[4:5], vcc
	s_cbranch_execz .LBB59_70
; %bb.8:
	v_lshrrev_b32_e32 v1, 2, v42
	s_lshl_b32 s12, s30, 6
	v_and_b32_e32 v9, 0xfc, v1
	s_load_dwordx4 s[20:23], s[28:29], 0x48
	v_add_u32_e32 v8, s12, v9
	v_add_u32_e32 v11, 4, v8
	v_sub_u32_e64 v10, v11, s13 clamp
	s_load_dwordx4 s[16:19], s[28:29], 0x0
	s_load_dwordx2 s[24:25], s[28:29], 0x10
	v_sub_u32_e32 v3, v8, v10
	v_mad_u64_u32 v[1:2], s[4:5], v0, s14, v[3:4]
	s_waitcnt lgkmcnt(0)
	s_bitcmp1_b32 s22, 0
	s_cselect_b64 vcc, -1, 0
	s_cmp_lg_u64 s[18:19], 0
	s_mul_i32 s21, s21, s35
	s_cselect_b64 s[10:11], -1, 0
	s_cmp_eq_u64 s[18:19], 0
	v_mov_b32_e32 v14, 0
	v_mov_b32_e32 v15, 0
	s_cbranch_scc1 .LBB59_10
; %bb.9:
	v_mad_u64_u32 v[4:5], s[4:5], v3, s14, v[0:1]
	v_mov_b32_e32 v5, 0
	v_mov_b32_e32 v2, s19
	v_cndmask_b32_e32 v4, v4, v1, vcc
	v_add_u32_e32 v4, s21, v4
	v_lshlrev_b64 v[4:5], 1, v[4:5]
	v_add_co_u32_e64 v4, s[4:5], s18, v4
	v_addc_co_u32_e64 v5, s[4:5], v2, v5, s[4:5]
	global_load_ushort v2, v[4:5], off
	s_waitcnt vmcnt(0)
	v_lshlrev_b32_e32 v15, 16, v2
.LBB59_10:
	s_load_dword s6, s[28:29], 0x50
	s_xor_b64 s[8:9], vcc, -1
	v_mad_u64_u32 v[4:5], s[4:5], v0, s15, v[3:4]
	v_mul_lo_u32 v16, v3, s15
	s_waitcnt lgkmcnt(0)
	s_bitcmp1_b32 s6, 8
	s_cselect_b64 s[6:7], -1, 0
	s_cmp_lg_u64 s[24:25], 0
	s_cselect_b64 s[22:23], -1, 0
	s_cmp_eq_u64 s[24:25], 0
	s_cbranch_scc1 .LBB59_12
; %bb.11:
	v_add_u32_e32 v2, v16, v0
	v_cndmask_b32_e64 v2, v4, v2, s[6:7]
	v_add_u32_e32 v5, s21, v2
	v_mov_b32_e32 v6, 0
	v_lshlrev_b64 v[5:6], 1, v[5:6]
	v_mov_b32_e32 v2, s25
	v_add_co_u32_e32 v5, vcc, s24, v5
	v_addc_co_u32_e32 v6, vcc, v2, v6, vcc
	global_load_ushort v2, v[5:6], off
	s_waitcnt vmcnt(0)
	v_lshlrev_b32_e32 v14, 16, v2
.LBB59_12:
	v_cndmask_b32_e64 v2, 0, 1, s[8:9]
	v_cmp_ne_u32_e64 s[4:5], 1, v2
	s_andn2_b64 vcc, exec, s[8:9]
	s_cbranch_vccnz .LBB59_14
; %bb.13:
	v_mul_lo_u32 v2, s14, v3
	v_add3_u32 v2, v2, s14, v0
	s_xor_b64 s[8:9], s[6:7], -1
	s_cbranch_execz .LBB59_15
	s_branch .LBB59_16
.LBB59_14:
                                        ; implicit-def: $vgpr2
	s_xor_b64 s[8:9], s[6:7], -1
.LBB59_15:
	v_add_u32_e32 v2, 1, v1
.LBB59_16:
	v_cndmask_b32_e64 v5, 0, 1, s[8:9]
	v_cmp_ne_u32_e64 s[6:7], 1, v5
	s_andn2_b64 vcc, exec, s[8:9]
	s_cbranch_vccnz .LBB59_18
; %bb.17:
	v_add_u32_e32 v5, 1, v4
	s_cbranch_execz .LBB59_19
	s_branch .LBB59_20
.LBB59_18:
                                        ; implicit-def: $vgpr5
.LBB59_19:
	v_add3_u32 v5, v16, s15, v0
.LBB59_20:
	v_cndmask_b32_e64 v6, 0, 1, s[10:11]
	v_mov_b32_e32 v18, 0
	v_cmp_ne_u32_e64 s[8:9], 1, v6
	s_andn2_b64 vcc, exec, s[10:11]
	v_mov_b32_e32 v17, 0
	s_cbranch_vccnz .LBB59_22
; %bb.21:
	v_add_u32_e32 v19, s21, v2
	v_mov_b32_e32 v20, 0
	v_lshlrev_b64 v[19:20], 1, v[19:20]
	v_mov_b32_e32 v2, s19
	v_add_co_u32_e32 v19, vcc, s18, v19
	v_addc_co_u32_e32 v20, vcc, v2, v20, vcc
	global_load_ushort v2, v[19:20], off
	s_waitcnt vmcnt(0)
	v_lshlrev_b32_e32 v17, 16, v2
.LBB59_22:
	v_cndmask_b32_e64 v2, 0, 1, s[22:23]
	v_cmp_ne_u32_e64 s[10:11], 1, v2
	s_andn2_b64 vcc, exec, s[22:23]
	s_cbranch_vccnz .LBB59_24
; %bb.23:
	v_add_u32_e32 v5, s21, v5
	v_mov_b32_e32 v6, 0
	v_lshlrev_b64 v[5:6], 1, v[5:6]
	v_mov_b32_e32 v2, s25
	v_add_co_u32_e32 v5, vcc, s24, v5
	v_addc_co_u32_e32 v6, vcc, v2, v6, vcc
	global_load_ushort v2, v[5:6], off
	s_waitcnt vmcnt(0)
	v_lshlrev_b32_e32 v18, 16, v2
.LBB59_24:
	s_and_b64 vcc, exec, s[4:5]
	s_cbranch_vccnz .LBB59_26
; %bb.25:
	v_add_u32_e32 v2, 2, v3
	v_mad_u64_u32 v[5:6], s[22:23], v2, s14, v[0:1]
	s_cbranch_execz .LBB59_27
	s_branch .LBB59_28
.LBB59_26:
                                        ; implicit-def: $vgpr5
.LBB59_27:
	v_add_u32_e32 v5, 2, v1
.LBB59_28:
	s_and_b64 vcc, exec, s[6:7]
	s_cbranch_vccnz .LBB59_30
; %bb.29:
	v_add_u32_e32 v2, 2, v4
	s_cbranch_execz .LBB59_31
	s_branch .LBB59_32
.LBB59_30:
                                        ; implicit-def: $vgpr2
.LBB59_31:
	s_lshl_b32 s22, s15, 1
	v_add3_u32 v2, v16, s22, v0
.LBB59_32:
	v_mov_b32_e32 v19, 0
	s_and_b64 vcc, exec, s[8:9]
	v_mov_b32_e32 v6, 0
	s_cbranch_vccnz .LBB59_34
; %bb.33:
	v_add_u32_e32 v5, s21, v5
	v_mov_b32_e32 v6, 0
	v_lshlrev_b64 v[5:6], 1, v[5:6]
	v_mov_b32_e32 v20, s19
	v_add_co_u32_e32 v5, vcc, s18, v5
	v_addc_co_u32_e32 v6, vcc, v20, v6, vcc
	global_load_ushort v5, v[5:6], off
	s_waitcnt vmcnt(0)
	v_lshlrev_b32_e32 v6, 16, v5
.LBB59_34:
	s_and_b64 vcc, exec, s[10:11]
	s_cbranch_vccnz .LBB59_36
; %bb.35:
	v_add_u32_e32 v19, s21, v2
	v_mov_b32_e32 v20, 0
	v_lshlrev_b64 v[19:20], 1, v[19:20]
	v_mov_b32_e32 v2, s25
	v_add_co_u32_e32 v19, vcc, s24, v19
	v_addc_co_u32_e32 v20, vcc, v2, v20, vcc
	global_load_ushort v2, v[19:20], off
	s_waitcnt vmcnt(0)
	v_lshlrev_b32_e32 v19, 16, v2
.LBB59_36:
	s_and_b64 vcc, exec, s[4:5]
	s_cbranch_vccnz .LBB59_38
; %bb.37:
	v_add_u32_e32 v2, 3, v3
	v_mad_u64_u32 v[2:3], s[4:5], v2, s14, v[0:1]
	s_cbranch_execz .LBB59_39
	s_branch .LBB59_40
.LBB59_38:
                                        ; implicit-def: $vgpr2
.LBB59_39:
	v_add_u32_e32 v2, 3, v1
.LBB59_40:
	s_and_b64 vcc, exec, s[6:7]
	s_cbranch_vccnz .LBB59_42
; %bb.41:
	v_add_u32_e32 v1, 3, v4
	s_cbranch_execz .LBB59_43
	s_branch .LBB59_44
.LBB59_42:
                                        ; implicit-def: $vgpr1
.LBB59_43:
	s_mul_i32 s4, s15, 3
	v_add3_u32 v1, v16, s4, v0
.LBB59_44:
	v_mov_b32_e32 v4, 0
	s_and_b64 vcc, exec, s[8:9]
	v_mov_b32_e32 v3, 0
	s_cbranch_vccnz .LBB59_46
; %bb.45:
	v_add_u32_e32 v2, s21, v2
	v_mov_b32_e32 v3, 0
	v_lshlrev_b64 v[2:3], 1, v[2:3]
	v_mov_b32_e32 v5, s19
	v_add_co_u32_e32 v2, vcc, s18, v2
	v_addc_co_u32_e32 v3, vcc, v5, v3, vcc
	global_load_ushort v2, v[2:3], off
	s_waitcnt vmcnt(0)
	v_lshlrev_b32_e32 v3, 16, v2
.LBB59_46:
	s_and_b64 vcc, exec, s[10:11]
	s_cbranch_vccnz .LBB59_48
; %bb.47:
	v_add_u32_e32 v1, s21, v1
	v_mov_b32_e32 v2, 0
	v_lshlrev_b64 v[1:2], 1, v[1:2]
	v_mov_b32_e32 v4, s25
	v_add_co_u32_e32 v1, vcc, s24, v1
	v_addc_co_u32_e32 v2, vcc, v4, v2, vcc
	global_load_ushort v1, v[1:2], off
	s_waitcnt vmcnt(0)
	v_lshlrev_b32_e32 v4, 16, v1
.LBB59_48:
	s_waitcnt vmcnt(0)
	v_mul_f32_e32 v1, v13, v14
	v_fmac_f32_e32 v1, v12, v15
	s_mov_b32 s4, 0x7f800000
	v_and_b32_e32 v2, 0x7f800000, v1
	v_cmp_ne_u32_e32 vcc, s4, v2
                                        ; implicit-def: $vgpr2
	s_and_saveexec_b64 s[4:5], vcc
	s_xor_b64 s[4:5], exec, s[4:5]
; %bb.49:
	v_bfe_u32 v2, v1, 16, 1
	s_movk_i32 s6, 0x7fff
	v_add3_u32 v2, v1, v2, s6
                                        ; implicit-def: $vgpr1
; %bb.50:
	s_andn2_saveexec_b64 s[4:5], s[4:5]
; %bb.51:
	v_mov_b32_e32 v2, 0
	v_or_b32_e32 v5, 0x10000, v1
	v_cmp_eq_u32_sdwa vcc, v1, v2 src0_sel:WORD_0 src1_sel:DWORD
	v_cndmask_b32_e32 v2, v5, v1, vcc
; %bb.52:
	s_or_b64 exec, exec, s[4:5]
	s_load_dwordx2 s[4:5], s[26:27], 0x4
	v_mul_f32_e32 v5, v13, v18
	v_fmac_f32_e32 v5, v12, v17
	v_and_b32_e32 v15, 0x7f800000, v5
	v_lshrrev_b32_e32 v2, 16, v2
	s_waitcnt lgkmcnt(0)
	s_lshr_b32 s4, s4, 16
	s_mul_i32 s4, s4, s5
	v_mul_lo_u32 v1, s4, v42
	s_mov_b32 s4, 0x7f800000
	v_cmp_ne_u32_e32 vcc, s4, v15
                                        ; implicit-def: $vgpr15
	v_mad_u32_u24 v14, v43, s5, v1
	v_add_lshl_u32 v14, v14, v41, 3
	ds_write_b16 v14, v2
	s_and_saveexec_b64 s[6:7], vcc
	s_xor_b64 s[6:7], exec, s[6:7]
; %bb.53:
	v_bfe_u32 v15, v5, 16, 1
	s_movk_i32 s4, 0x7fff
	v_add3_u32 v15, v5, v15, s4
                                        ; implicit-def: $vgpr5
; %bb.54:
	s_andn2_saveexec_b64 s[6:7], s[6:7]
; %bb.55:
	v_mov_b32_e32 v15, 0
	v_or_b32_e32 v16, 0x10000, v5
	v_cmp_eq_u32_sdwa vcc, v5, v15 src0_sel:WORD_0 src1_sel:DWORD
	v_cndmask_b32_e32 v15, v16, v5, vcc
; %bb.56:
	s_or_b64 exec, exec, s[6:7]
	v_lshrrev_b32_e32 v5, 16, v15
	v_mul_f32_e32 v15, v13, v19
	v_fmac_f32_e32 v15, v12, v6
	s_mov_b32 s4, 0x7f800000
	v_and_b32_e32 v6, 0x7f800000, v15
	v_cmp_ne_u32_e32 vcc, s4, v6
	ds_write_b16 v14, v5 offset:2
                                        ; implicit-def: $vgpr6
	s_and_saveexec_b64 s[6:7], vcc
	s_xor_b64 s[6:7], exec, s[6:7]
; %bb.57:
	v_bfe_u32 v6, v15, 16, 1
	s_movk_i32 s4, 0x7fff
	v_add3_u32 v6, v15, v6, s4
                                        ; implicit-def: $vgpr15
; %bb.58:
	s_andn2_saveexec_b64 s[6:7], s[6:7]
; %bb.59:
	v_mov_b32_e32 v6, 0
	v_or_b32_e32 v16, 0x10000, v15
	v_cmp_eq_u32_sdwa vcc, v15, v6 src0_sel:WORD_0 src1_sel:DWORD
	v_cndmask_b32_e32 v6, v16, v15, vcc
; %bb.60:
	s_or_b64 exec, exec, s[6:7]
	v_mul_f32_e32 v4, v13, v4
	v_fmac_f32_e32 v4, v12, v3
	s_mov_b32 s4, 0x7f800000
	v_and_b32_e32 v3, 0x7f800000, v4
	v_lshrrev_b32_e32 v6, 16, v6
	v_cmp_ne_u32_e32 vcc, s4, v3
	ds_write_b16 v14, v6 offset:4
                                        ; implicit-def: $vgpr3
	s_and_saveexec_b64 s[6:7], vcc
	s_xor_b64 s[6:7], exec, s[6:7]
; %bb.61:
	v_bfe_u32 v3, v4, 16, 1
	s_movk_i32 s4, 0x7fff
	v_add3_u32 v3, v4, v3, s4
                                        ; implicit-def: $vgpr4
; %bb.62:
	s_andn2_saveexec_b64 s[6:7], s[6:7]
; %bb.63:
	v_mov_b32_e32 v3, 0
	v_or_b32_e32 v12, 0x10000, v4
	v_cmp_eq_u32_sdwa vcc, v4, v3 src0_sel:WORD_0 src1_sel:DWORD
	v_cndmask_b32_e32 v3, v12, v4, vcc
; %bb.64:
	s_or_b64 exec, exec, s[6:7]
	v_lshrrev_b32_e32 v3, 16, v3
	v_cmp_ge_u32_e32 vcc, s13, v11
	ds_write_b16 v14, v3 offset:6
	s_and_saveexec_b64 s[6:7], vcc
	s_xor_b64 s[6:7], exec, s[6:7]
	s_cbranch_execz .LBB59_66
; %bb.65:
	v_mul_lo_u32 v0, v0, s20
	v_mov_b32_e32 v1, 0
	v_mov_b32_e32 v4, s17
                                        ; implicit-def: $vgpr9
                                        ; implicit-def: $vgpr11
                                        ; implicit-def: $vgpr42
                                        ; implicit-def: $vgpr43
                                        ; implicit-def: $vgpr41
	v_add3_u32 v0, v8, s21, v0
	v_sub_u32_e32 v0, v0, v10
	v_lshlrev_b64 v[7:8], 1, v[0:1]
                                        ; implicit-def: $vgpr10
	v_add_co_u32_e32 v7, vcc, s16, v7
	v_addc_co_u32_e32 v8, vcc, v4, v8, vcc
	global_store_short v[7:8], v2, off
	v_add_u32_e32 v7, 1, v0
	v_mov_b32_e32 v8, v1
	v_lshlrev_b64 v[7:8], 1, v[7:8]
	v_mov_b32_e32 v2, s17
	v_add_co_u32_e32 v7, vcc, s16, v7
	v_addc_co_u32_e32 v8, vcc, v2, v8, vcc
	global_store_short v[7:8], v5, off
	v_add_u32_e32 v4, 2, v0
	v_mov_b32_e32 v5, v1
	v_lshlrev_b64 v[4:5], 1, v[4:5]
	v_add_u32_e32 v0, 3, v0
	v_add_co_u32_e32 v4, vcc, s16, v4
	v_lshlrev_b64 v[0:1], 1, v[0:1]
	v_addc_co_u32_e32 v5, vcc, v2, v5, vcc
	v_add_co_u32_e32 v0, vcc, s16, v0
	v_addc_co_u32_e32 v1, vcc, v2, v1, vcc
	global_store_short v[4:5], v6, off
	global_store_short v[0:1], v3, off
                                        ; implicit-def: $vgpr7
                                        ; implicit-def: $vgpr8
                                        ; implicit-def: $vgpr1
.LBB59_66:
	s_andn2_saveexec_b64 s[6:7], s[6:7]
	s_cbranch_execz .LBB59_70
; %bb.67:
	v_cmp_gt_u32_e32 vcc, 4, v10
	s_and_b64 exec, exec, vcc
	s_cbranch_execz .LBB59_70
; %bb.68:
	v_lshl_or_b32 v0, s34, 4, v7
	s_lshl_b32 s4, s31, 4
	v_mul_u32_u24_e32 v3, s5, v43
	v_subrev_u32_e32 v0, s4, v0
	v_lshrrev_b32_e32 v5, 4, v42
	v_mul_lo_u32 v0, s20, v0
	v_add3_u32 v3, v3, v41, v5
	v_min_u32_e32 v4, s13, v11
	v_add_lshl_u32 v1, v3, v1, 3
	v_lshl_add_u32 v1, s30, 7, v1
	v_lshlrev_b32_e32 v3, 1, v4
	v_sub_u32_e32 v2, v8, v4
	s_add_i32 s12, s12, s21
	v_sub_u32_e32 v1, v1, v3
	v_add_u32_e32 v2, 3, v2
	v_add3_u32 v0, s12, v0, v9
	v_add_u32_e32 v3, 8, v1
	s_mov_b64 s[6:7], 0
	v_mov_b32_e32 v1, 0
	v_mov_b32_e32 v4, s17
.LBB59_69:                              ; =>This Inner Loop Header: Depth=1
	ds_read_u16 v7, v3
	v_lshlrev_b64 v[5:6], 1, v[0:1]
	v_add_u32_e32 v2, 1, v2
	v_cmp_lt_u32_e32 vcc, 2, v2
	v_add_co_u32_e64 v5, s[4:5], s16, v5
	v_add_u32_e32 v0, 1, v0
	v_add_u32_e32 v3, 2, v3
	v_addc_co_u32_e64 v6, s[4:5], v4, v6, s[4:5]
	s_or_b64 s[6:7], vcc, s[6:7]
	s_waitcnt lgkmcnt(0)
	global_store_short v[5:6], v7, off
	s_andn2_b64 exec, exec, s[6:7]
	s_cbranch_execnz .LBB59_69
.LBB59_70:
	s_endpgm
	.section	.rodata,"a",@progbits
	.p2align	6, 0x0
	.amdhsa_kernel Transform_BF16_S_011_16_16_VW_4
		.amdhsa_group_segment_fixed_size 8192
		.amdhsa_private_segment_fixed_size 64
		.amdhsa_kernarg_size 344
		.amdhsa_user_sgpr_count 10
		.amdhsa_user_sgpr_private_segment_buffer 1
		.amdhsa_user_sgpr_dispatch_ptr 1
		.amdhsa_user_sgpr_queue_ptr 0
		.amdhsa_user_sgpr_kernarg_segment_ptr 1
		.amdhsa_user_sgpr_dispatch_id 0
		.amdhsa_user_sgpr_flat_scratch_init 1
		.amdhsa_user_sgpr_private_segment_size 0
		.amdhsa_uses_dynamic_stack 0
		.amdhsa_system_sgpr_private_segment_wavefront_offset 1
		.amdhsa_system_sgpr_workgroup_id_x 1
		.amdhsa_system_sgpr_workgroup_id_y 0
		.amdhsa_system_sgpr_workgroup_id_z 1
		.amdhsa_system_sgpr_workgroup_info 0
		.amdhsa_system_vgpr_workitem_id 2
		.amdhsa_next_free_vgpr 44
		.amdhsa_next_free_sgpr 36
		.amdhsa_reserve_vcc 1
		.amdhsa_reserve_flat_scratch 1
		.amdhsa_float_round_mode_32 0
		.amdhsa_float_round_mode_16_64 0
		.amdhsa_float_denorm_mode_32 3
		.amdhsa_float_denorm_mode_16_64 3
		.amdhsa_dx10_clamp 1
		.amdhsa_ieee_mode 1
		.amdhsa_fp16_overflow 0
		.amdhsa_exception_fp_ieee_invalid_op 0
		.amdhsa_exception_fp_denorm_src 0
		.amdhsa_exception_fp_ieee_div_zero 0
		.amdhsa_exception_fp_ieee_overflow 0
		.amdhsa_exception_fp_ieee_underflow 0
		.amdhsa_exception_fp_ieee_inexact 0
		.amdhsa_exception_int_div_zero 0
	.end_amdhsa_kernel
	.text
.Lfunc_end59:
	.size	Transform_BF16_S_011_16_16_VW_4, .Lfunc_end59-Transform_BF16_S_011_16_16_VW_4
                                        ; -- End function
	.set Transform_BF16_S_011_16_16_VW_4.num_vgpr, max(44, .L__assert_fail.num_vgpr)
	.set Transform_BF16_S_011_16_16_VW_4.num_agpr, max(0, .L__assert_fail.num_agpr)
	.set Transform_BF16_S_011_16_16_VW_4.numbered_sgpr, max(36, .L__assert_fail.numbered_sgpr)
	.set Transform_BF16_S_011_16_16_VW_4.num_named_barrier, max(0, .L__assert_fail.num_named_barrier)
	.set Transform_BF16_S_011_16_16_VW_4.private_seg_size, 0+max(.L__assert_fail.private_seg_size)
	.set Transform_BF16_S_011_16_16_VW_4.uses_vcc, or(1, .L__assert_fail.uses_vcc)
	.set Transform_BF16_S_011_16_16_VW_4.uses_flat_scratch, or(1, .L__assert_fail.uses_flat_scratch)
	.set Transform_BF16_S_011_16_16_VW_4.has_dyn_sized_stack, or(0, .L__assert_fail.has_dyn_sized_stack)
	.set Transform_BF16_S_011_16_16_VW_4.has_recursion, or(0, .L__assert_fail.has_recursion)
	.set Transform_BF16_S_011_16_16_VW_4.has_indirect_call, or(0, .L__assert_fail.has_indirect_call)
	.section	.AMDGPU.csdata,"",@progbits
; Kernel info:
; codeLenInByte = 2092
; TotalNumSgprs: 42
; NumVgprs: 44
; ScratchSize: 64
; MemoryBound: 0
; FloatMode: 240
; IeeeMode: 1
; LDSByteSize: 8192 bytes/workgroup (compile time only)
; SGPRBlocks: 5
; VGPRBlocks: 10
; NumSGPRsForWavesPerEU: 42
; NumVGPRsForWavesPerEU: 44
; Occupancy: 5
; WaveLimiterHint : 1
; COMPUTE_PGM_RSRC2:SCRATCH_EN: 1
; COMPUTE_PGM_RSRC2:USER_SGPR: 10
; COMPUTE_PGM_RSRC2:TRAP_HANDLER: 0
; COMPUTE_PGM_RSRC2:TGID_X_EN: 1
; COMPUTE_PGM_RSRC2:TGID_Y_EN: 0
; COMPUTE_PGM_RSRC2:TGID_Z_EN: 1
; COMPUTE_PGM_RSRC2:TIDIG_COMP_CNT: 2
	.text
	.protected	Transform_BF16_S_010_16_16_VW_1 ; -- Begin function Transform_BF16_S_010_16_16_VW_1
	.globl	Transform_BF16_S_010_16_16_VW_1
	.p2align	8
	.type	Transform_BF16_S_010_16_16_VW_1,@function
Transform_BF16_S_010_16_16_VW_1:        ; @Transform_BF16_S_010_16_16_VW_1
; %bb.0:
	s_mov_b64 s[26:27], s[4:5]
	s_load_dword s4, s[4:5], 0x64
	s_add_u32 flat_scratch_lo, s6, s10
	s_addc_u32 flat_scratch_hi, s7, 0
	s_add_u32 s0, s0, s10
	s_addc_u32 s1, s1, 0
	s_waitcnt lgkmcnt(0)
	s_and_b32 s4, s4, 0xffff
	s_mov_b32 s28, s9
	s_mov_b32 s29, s8
	v_mov_b32_e32 v41, v0
	s_cmpk_eq_i32 s4, 0x100
	s_mov_b64 s[4:5], -1
	s_mov_b32 s32, 0
	s_cbranch_scc1 .LBB60_2
; %bb.1:
	s_add_u32 s8, s26, 0x58
	s_addc_u32 s9, s27, 0
	s_getpc_b64 s[4:5]
	s_add_u32 s4, s4, __PRETTY_FUNCTION__._ZN10amd_detail9transformI12hip_bfloat16fLb0ELb1ELb0ELj16ELj16ELj1EEEvPT_PKS2_S5_T0_PKS6_S6_S8_jjjjjjbb@rel32@lo+4
	s_addc_u32 s5, s5, __PRETTY_FUNCTION__._ZN10amd_detail9transformI12hip_bfloat16fLb0ELb1ELb0ELj16ELj16ELj1EEEvPT_PKS2_S5_T0_PKS6_S6_S8_jjjjjjbb@rel32@hi+12
	s_getpc_b64 s[6:7]
	s_add_u32 s6, s6, __assert_fail@rel32@lo+4
	s_addc_u32 s7, s7, __assert_fail@rel32@hi+12
	v_mov_b32_e32 v0, s4
	v_mov_b32_e32 v1, s5
	s_swappc_b64 s[30:31], s[6:7]
	s_mov_b64 s[4:5], 0
	; divergent unreachable
.LBB60_2:
	s_andn2_b64 vcc, exec, s[4:5]
	s_cbranch_vccnz .LBB60_17
; %bb.3:
	s_load_dwordx8 s[4:11], s[26:27], 0x38
	s_waitcnt lgkmcnt(0)
	s_lshr_b32 s11, s4, 4
	s_and_b32 s12, s4, 15
	s_cmp_lg_u32 s12, 0
	s_cselect_b64 s[12:13], -1, 0
	s_cmp_lg_u64 s[12:13], 0
	s_addc_u32 s11, s11, 0
	v_cvt_f32_u32_e32 v0, s11
	s_load_dword s15, s[26:27], 0x18
	s_load_dwordx2 s[12:13], s[26:27], 0x20
	s_sub_i32 s14, 0, s11
	v_rcp_iflag_f32_e32 v0, v0
	s_waitcnt lgkmcnt(0)
	v_mov_b32_e32 v1, s15
	v_mul_f32_e32 v0, 0x4f7ffffe, v0
	v_cvt_u32_f32_e32 v0, v0
	v_readfirstlane_b32 s16, v0
	s_mul_i32 s14, s14, s16
	s_mul_hi_u32 s14, s16, s14
	s_add_i32 s16, s16, s14
	s_mul_hi_u32 s14, s29, s16
	s_cmp_eq_u64 s[12:13], 0
	s_cbranch_scc1 .LBB60_5
; %bb.4:
	v_mov_b32_e32 v0, 0
	global_load_dword v1, v0, s[12:13]
.LBB60_5:
	s_load_dwordx2 s[12:13], s[26:27], 0x30
	s_load_dword s15, s[26:27], 0x28
	s_waitcnt lgkmcnt(0)
	s_cmp_eq_u64 s[12:13], 0
	v_mov_b32_e32 v3, s15
	s_cbranch_scc1 .LBB60_7
; %bb.6:
	v_mov_b32_e32 v0, 0
	global_load_dword v3, v0, s[12:13]
.LBB60_7:
	s_mul_i32 s12, s14, s11
	s_sub_i32 s12, s29, s12
	s_add_i32 s13, s14, 1
	s_sub_i32 s15, s12, s11
	s_cmp_ge_u32 s12, s11
	s_cselect_b32 s13, s13, s14
	s_cselect_b32 s12, s15, s12
	s_add_i32 s14, s13, 1
	s_cmp_ge_u32 s12, s11
	s_cselect_b32 s12, s14, s13
	s_mul_i32 s11, s12, s11
	s_sub_i32 s11, s29, s11
	v_and_b32_e32 v0, 15, v41
	v_lshrrev_b32_e32 v2, 4, v41
	v_lshl_or_b32 v0, s11, 4, v0
	v_lshl_add_u32 v2, s12, 4, v2
	v_cmp_gt_u32_e32 vcc, s4, v0
	v_cmp_gt_u32_e64 s[4:5], s5, v2
	s_and_b64 s[4:5], vcc, s[4:5]
	s_and_saveexec_b64 s[12:13], s[4:5]
	s_cbranch_execz .LBB60_17
; %bb.8:
	s_load_dwordx4 s[12:15], s[26:27], 0x0
	s_load_dwordx2 s[4:5], s[26:27], 0x10
	s_mul_i32 s9, s9, s28
	v_mov_b32_e32 v5, 0
	v_mov_b32_e32 v4, 0
	s_waitcnt lgkmcnt(0)
	s_cmp_eq_u64 s[14:15], 0
	s_cbranch_scc1 .LBB60_10
; %bb.9:
	s_bitcmp1_b32 s10, 0
	s_cselect_b64 vcc, -1, 0
	v_cndmask_b32_e32 v4, v2, v0, vcc
	v_mul_lo_u32 v4, v4, s6
	v_cndmask_b32_e32 v6, v0, v2, vcc
	v_mov_b32_e32 v7, 0
	v_add3_u32 v6, v6, s9, v4
	v_lshlrev_b64 v[6:7], 1, v[6:7]
	v_mov_b32_e32 v4, s15
	v_add_co_u32_e32 v6, vcc, s14, v6
	v_addc_co_u32_e32 v7, vcc, v4, v7, vcc
	global_load_ushort v4, v[6:7], off
	s_waitcnt vmcnt(0)
	v_lshlrev_b32_e32 v4, 16, v4
.LBB60_10:
	s_cmp_eq_u64 s[4:5], 0
	s_cbranch_scc1 .LBB60_12
; %bb.11:
	s_load_dword s6, s[26:27], 0x50
	v_mov_b32_e32 v6, 0
	v_mov_b32_e32 v7, s5
	s_waitcnt lgkmcnt(0)
	s_bitcmp1_b32 s6, 8
	s_cselect_b64 vcc, -1, 0
	v_cndmask_b32_e32 v5, v0, v2, vcc
	v_mul_lo_u32 v5, v5, s7
	v_cndmask_b32_e32 v8, v2, v0, vcc
	v_add3_u32 v5, v8, s9, v5
	v_lshlrev_b64 v[5:6], 1, v[5:6]
	v_add_co_u32_e32 v5, vcc, s4, v5
	v_addc_co_u32_e32 v6, vcc, v7, v6, vcc
	global_load_ushort v5, v[5:6], off
	s_waitcnt vmcnt(0)
	v_lshlrev_b32_e32 v5, 16, v5
.LBB60_12:
	s_waitcnt vmcnt(0)
	v_mul_f32_e32 v3, v3, v5
	v_fmac_f32_e32 v3, v1, v4
	s_mov_b32 s4, 0x7f800000
	v_and_b32_e32 v1, 0x7f800000, v3
	v_cmp_ne_u32_e32 vcc, s4, v1
                                        ; implicit-def: $vgpr1
	s_and_saveexec_b64 s[4:5], vcc
	s_xor_b64 s[4:5], exec, s[4:5]
; %bb.13:
	v_bfe_u32 v1, v3, 16, 1
	s_movk_i32 s6, 0x7fff
	v_add3_u32 v1, v3, v1, s6
                                        ; implicit-def: $vgpr3
; %bb.14:
	s_andn2_saveexec_b64 s[4:5], s[4:5]
; %bb.15:
	v_mov_b32_e32 v1, 0
	v_or_b32_e32 v4, 0x10000, v3
	v_cmp_eq_u32_sdwa vcc, v3, v1 src0_sel:WORD_0 src1_sel:DWORD
	v_cndmask_b32_e32 v1, v4, v3, vcc
; %bb.16:
	s_or_b64 exec, exec, s[4:5]
	v_mul_lo_u32 v2, v2, s8
	v_mov_b32_e32 v3, 0
	v_mov_b32_e32 v4, s13
	v_add3_u32 v2, v0, s9, v2
	v_lshlrev_b64 v[2:3], 1, v[2:3]
	v_add_co_u32_e32 v2, vcc, s12, v2
	v_addc_co_u32_e32 v3, vcc, v4, v3, vcc
	global_store_short_d16_hi v[2:3], v1, off
.LBB60_17:
	s_endpgm
	.section	.rodata,"a",@progbits
	.p2align	6, 0x0
	.amdhsa_kernel Transform_BF16_S_010_16_16_VW_1
		.amdhsa_group_segment_fixed_size 0
		.amdhsa_private_segment_fixed_size 64
		.amdhsa_kernarg_size 344
		.amdhsa_user_sgpr_count 8
		.amdhsa_user_sgpr_private_segment_buffer 1
		.amdhsa_user_sgpr_dispatch_ptr 0
		.amdhsa_user_sgpr_queue_ptr 0
		.amdhsa_user_sgpr_kernarg_segment_ptr 1
		.amdhsa_user_sgpr_dispatch_id 0
		.amdhsa_user_sgpr_flat_scratch_init 1
		.amdhsa_user_sgpr_private_segment_size 0
		.amdhsa_uses_dynamic_stack 0
		.amdhsa_system_sgpr_private_segment_wavefront_offset 1
		.amdhsa_system_sgpr_workgroup_id_x 1
		.amdhsa_system_sgpr_workgroup_id_y 0
		.amdhsa_system_sgpr_workgroup_id_z 1
		.amdhsa_system_sgpr_workgroup_info 0
		.amdhsa_system_vgpr_workitem_id 0
		.amdhsa_next_free_vgpr 42
		.amdhsa_next_free_sgpr 34
		.amdhsa_reserve_vcc 1
		.amdhsa_reserve_flat_scratch 1
		.amdhsa_float_round_mode_32 0
		.amdhsa_float_round_mode_16_64 0
		.amdhsa_float_denorm_mode_32 3
		.amdhsa_float_denorm_mode_16_64 3
		.amdhsa_dx10_clamp 1
		.amdhsa_ieee_mode 1
		.amdhsa_fp16_overflow 0
		.amdhsa_exception_fp_ieee_invalid_op 0
		.amdhsa_exception_fp_denorm_src 0
		.amdhsa_exception_fp_ieee_div_zero 0
		.amdhsa_exception_fp_ieee_overflow 0
		.amdhsa_exception_fp_ieee_underflow 0
		.amdhsa_exception_fp_ieee_inexact 0
		.amdhsa_exception_int_div_zero 0
	.end_amdhsa_kernel
	.text
.Lfunc_end60:
	.size	Transform_BF16_S_010_16_16_VW_1, .Lfunc_end60-Transform_BF16_S_010_16_16_VW_1
                                        ; -- End function
	.set Transform_BF16_S_010_16_16_VW_1.num_vgpr, max(42, .L__assert_fail.num_vgpr)
	.set Transform_BF16_S_010_16_16_VW_1.num_agpr, max(0, .L__assert_fail.num_agpr)
	.set Transform_BF16_S_010_16_16_VW_1.numbered_sgpr, max(33, .L__assert_fail.numbered_sgpr)
	.set Transform_BF16_S_010_16_16_VW_1.num_named_barrier, max(0, .L__assert_fail.num_named_barrier)
	.set Transform_BF16_S_010_16_16_VW_1.private_seg_size, 0+max(.L__assert_fail.private_seg_size)
	.set Transform_BF16_S_010_16_16_VW_1.uses_vcc, or(1, .L__assert_fail.uses_vcc)
	.set Transform_BF16_S_010_16_16_VW_1.uses_flat_scratch, or(1, .L__assert_fail.uses_flat_scratch)
	.set Transform_BF16_S_010_16_16_VW_1.has_dyn_sized_stack, or(0, .L__assert_fail.has_dyn_sized_stack)
	.set Transform_BF16_S_010_16_16_VW_1.has_recursion, or(0, .L__assert_fail.has_recursion)
	.set Transform_BF16_S_010_16_16_VW_1.has_indirect_call, or(0, .L__assert_fail.has_indirect_call)
	.section	.AMDGPU.csdata,"",@progbits
; Kernel info:
; codeLenInByte = 756
; TotalNumSgprs: 40
; NumVgprs: 42
; ScratchSize: 64
; MemoryBound: 0
; FloatMode: 240
; IeeeMode: 1
; LDSByteSize: 0 bytes/workgroup (compile time only)
; SGPRBlocks: 4
; VGPRBlocks: 10
; NumSGPRsForWavesPerEU: 40
; NumVGPRsForWavesPerEU: 42
; Occupancy: 5
; WaveLimiterHint : 1
; COMPUTE_PGM_RSRC2:SCRATCH_EN: 1
; COMPUTE_PGM_RSRC2:USER_SGPR: 8
; COMPUTE_PGM_RSRC2:TRAP_HANDLER: 0
; COMPUTE_PGM_RSRC2:TGID_X_EN: 1
; COMPUTE_PGM_RSRC2:TGID_Y_EN: 0
; COMPUTE_PGM_RSRC2:TGID_Z_EN: 1
; COMPUTE_PGM_RSRC2:TIDIG_COMP_CNT: 0
	.text
	.protected	Transform_BF16_S_010_16_16_VW_4 ; -- Begin function Transform_BF16_S_010_16_16_VW_4
	.globl	Transform_BF16_S_010_16_16_VW_4
	.p2align	8
	.type	Transform_BF16_S_010_16_16_VW_4,@function
Transform_BF16_S_010_16_16_VW_4:        ; @Transform_BF16_S_010_16_16_VW_4
; %bb.0:
	s_mov_b64 s[26:27], s[4:5]
	s_load_dword s4, s[6:7], 0x64
	s_add_u32 flat_scratch_lo, s8, s12
	s_addc_u32 flat_scratch_hi, s9, 0
	s_add_u32 s0, s0, s12
	s_addc_u32 s1, s1, 0
	s_waitcnt lgkmcnt(0)
	s_and_b32 s4, s4, 0xffff
	s_mov_b32 s35, s11
	s_mov_b32 s34, s10
	s_mov_b64 s[28:29], s[6:7]
	v_mov_b32_e32 v41, v2
	v_mov_b32_e32 v43, v1
	;; [unrolled: 1-line block ×3, first 2 shown]
	s_cmpk_eq_i32 s4, 0x100
	s_mov_b64 s[4:5], -1
	s_mov_b32 s32, 0
	s_cbranch_scc1 .LBB61_2
; %bb.1:
	s_add_u32 s8, s28, 0x58
	s_addc_u32 s9, s29, 0
	s_getpc_b64 s[4:5]
	s_add_u32 s4, s4, __PRETTY_FUNCTION__._ZN10amd_detail9transformI12hip_bfloat16fLb0ELb1ELb0ELj16ELj16ELj4EEEvPT_PKS2_S5_T0_PKS6_S6_S8_jjjjjjbb@rel32@lo+4
	s_addc_u32 s5, s5, __PRETTY_FUNCTION__._ZN10amd_detail9transformI12hip_bfloat16fLb0ELb1ELb0ELj16ELj16ELj4EEEvPT_PKS2_S5_T0_PKS6_S6_S8_jjjjjjbb@rel32@hi+12
	s_getpc_b64 s[6:7]
	s_add_u32 s6, s6, __assert_fail@rel32@lo+4
	s_addc_u32 s7, s7, __assert_fail@rel32@hi+12
	v_mov_b32_e32 v0, s4
	v_mov_b32_e32 v1, s5
	s_swappc_b64 s[30:31], s[6:7]
	s_mov_b64 s[4:5], 0
	; divergent unreachable
.LBB61_2:
	s_andn2_b64 vcc, exec, s[4:5]
	s_cbranch_vccnz .LBB61_70
; %bb.3:
	s_load_dwordx8 s[12:19], s[28:29], 0x38
	s_waitcnt lgkmcnt(0)
	s_lshr_b32 s6, s12, 6
	s_and_b32 s4, s12, 63
	s_cmp_lg_u32 s4, 0
	s_cselect_b64 s[4:5], -1, 0
	s_cmp_lg_u64 s[4:5], 0
	s_addc_u32 s6, s6, 0
	v_cvt_f32_u32_e32 v0, s6
	s_load_dword s8, s[28:29], 0x18
	s_load_dwordx2 s[4:5], s[28:29], 0x20
	s_sub_i32 s7, 0, s6
	v_rcp_iflag_f32_e32 v0, v0
	s_waitcnt lgkmcnt(0)
	v_mov_b32_e32 v11, s8
	v_mul_f32_e32 v0, 0x4f7ffffe, v0
	v_cvt_u32_f32_e32 v0, v0
	v_readfirstlane_b32 s9, v0
	s_mul_i32 s7, s7, s9
	s_mul_hi_u32 s7, s9, s7
	s_add_i32 s9, s9, s7
	s_mul_hi_u32 s7, s34, s9
	s_cmp_eq_u64 s[4:5], 0
	s_cbranch_scc1 .LBB61_5
; %bb.4:
	v_mov_b32_e32 v0, 0
	global_load_dword v11, v0, s[4:5]
.LBB61_5:
	s_load_dwordx2 s[4:5], s[28:29], 0x30
	s_load_dword s8, s[28:29], 0x28
	s_waitcnt lgkmcnt(0)
	s_cmp_eq_u64 s[4:5], 0
	v_mov_b32_e32 v13, s8
	s_cbranch_scc1 .LBB61_7
; %bb.6:
	v_mov_b32_e32 v0, 0
	global_load_dword v13, v0, s[4:5]
.LBB61_7:
	s_mul_i32 s4, s7, s6
	s_sub_i32 s4, s34, s4
	s_add_i32 s5, s7, 1
	s_sub_i32 s8, s4, s6
	s_cmp_ge_u32 s4, s6
	s_cselect_b32 s5, s5, s7
	s_cselect_b32 s4, s8, s4
	s_add_i32 s7, s5, 1
	s_cmp_ge_u32 s4, s6
	s_cselect_b32 s4, s7, s5
	v_lshrrev_b32_e32 v0, 4, v42
	v_lshl_add_u32 v0, s4, 4, v0
	v_cmp_gt_u32_e32 vcc, s13, v0
	s_and_saveexec_b64 s[8:9], vcc
	s_cbranch_execz .LBB61_70
; %bb.8:
	s_mul_i32 s13, s4, s6
	v_lshlrev_b32_e32 v1, 2, v42
	s_sub_i32 s4, s34, s13
	v_and_b32_e32 v8, 60, v1
	v_lshl_or_b32 v10, s4, 6, v8
	v_add_u32_e32 v12, 4, v10
	s_load_dwordx4 s[20:23], s[28:29], 0x0
	s_load_dwordx2 s[24:25], s[28:29], 0x10
	v_sub_u32_e64 v9, v12, s12 clamp
	v_sub_u32_e32 v1, v10, v9
	v_mad_u64_u32 v[4:5], s[4:5], v0, s14, v[1:2]
	s_bitcmp1_b32 s18, 0
	s_cselect_b64 vcc, -1, 0
	s_waitcnt lgkmcnt(0)
	s_cmp_lg_u64 s[22:23], 0
	s_mul_i32 s17, s17, s35
	s_cselect_b64 s[10:11], -1, 0
	s_cmp_eq_u64 s[22:23], 0
	v_mov_b32_e32 v15, 0
	v_mov_b32_e32 v14, 0
	s_cbranch_scc1 .LBB61_10
; %bb.9:
	v_mad_u64_u32 v[2:3], s[4:5], v1, s14, v[0:1]
	v_mov_b32_e32 v3, 0
	v_mov_b32_e32 v5, s23
	v_cndmask_b32_e32 v2, v4, v2, vcc
	v_add_u32_e32 v2, s17, v2
	v_lshlrev_b64 v[2:3], 1, v[2:3]
	v_add_co_u32_e64 v2, s[4:5], s22, v2
	v_addc_co_u32_e64 v3, s[4:5], v5, v3, s[4:5]
	global_load_ushort v2, v[2:3], off
	s_waitcnt vmcnt(0)
	v_lshlrev_b32_e32 v14, 16, v2
.LBB61_10:
	s_load_dword s6, s[28:29], 0x50
	s_xor_b64 s[8:9], vcc, -1
	v_mad_u64_u32 v[2:3], s[4:5], v0, s15, v[1:2]
	s_waitcnt lgkmcnt(0)
	s_bitcmp1_b32 s6, 8
	s_cselect_b64 s[6:7], -1, 0
	s_cmp_lg_u64 s[24:25], 0
	s_cselect_b64 s[18:19], -1, 0
	s_cmp_eq_u64 s[24:25], 0
	s_cbranch_scc1 .LBB61_12
; %bb.11:
	v_mad_u64_u32 v[5:6], s[4:5], v1, s15, v[0:1]
	v_mov_b32_e32 v6, 0
	v_mov_b32_e32 v3, s25
	v_cndmask_b32_e64 v5, v5, v2, s[6:7]
	v_add_u32_e32 v5, s17, v5
	v_lshlrev_b64 v[5:6], 1, v[5:6]
	v_add_co_u32_e32 v5, vcc, s24, v5
	v_addc_co_u32_e32 v6, vcc, v3, v6, vcc
	global_load_ushort v3, v[5:6], off
	s_waitcnt vmcnt(0)
	v_lshlrev_b32_e32 v15, 16, v3
.LBB61_12:
	v_cndmask_b32_e64 v3, 0, 1, s[8:9]
	v_cmp_ne_u32_e64 s[4:5], 1, v3
	s_andn2_b64 vcc, exec, s[8:9]
	s_cbranch_vccnz .LBB61_14
; %bb.13:
	v_add_u32_e32 v3, 1, v4
	s_xor_b64 s[8:9], s[6:7], -1
	s_cbranch_execz .LBB61_15
	s_branch .LBB61_16
.LBB61_14:
                                        ; implicit-def: $vgpr3
	s_xor_b64 s[8:9], s[6:7], -1
.LBB61_15:
	v_mul_lo_u32 v3, s14, v1
	v_add3_u32 v3, v3, s14, v0
.LBB61_16:
	v_cndmask_b32_e64 v5, 0, 1, s[8:9]
	v_cmp_ne_u32_e64 s[6:7], 1, v5
	s_andn2_b64 vcc, exec, s[8:9]
	s_cbranch_vccnz .LBB61_18
; %bb.17:
	v_mul_lo_u32 v5, s15, v1
	v_add3_u32 v5, v5, s15, v0
	s_cbranch_execz .LBB61_19
	s_branch .LBB61_20
.LBB61_18:
                                        ; implicit-def: $vgpr5
.LBB61_19:
	v_add_u32_e32 v5, 1, v2
.LBB61_20:
	v_cndmask_b32_e64 v6, 0, 1, s[10:11]
	v_mov_b32_e32 v17, 0
	v_cmp_ne_u32_e64 s[8:9], 1, v6
	s_andn2_b64 vcc, exec, s[10:11]
	v_mov_b32_e32 v16, 0
	s_cbranch_vccnz .LBB61_22
; %bb.21:
	v_add_u32_e32 v6, s17, v3
	v_mov_b32_e32 v7, 0
	v_lshlrev_b64 v[6:7], 1, v[6:7]
	v_mov_b32_e32 v3, s23
	v_add_co_u32_e32 v6, vcc, s22, v6
	v_addc_co_u32_e32 v7, vcc, v3, v7, vcc
	global_load_ushort v3, v[6:7], off
	s_waitcnt vmcnt(0)
	v_lshlrev_b32_e32 v16, 16, v3
.LBB61_22:
	v_cndmask_b32_e64 v3, 0, 1, s[18:19]
	v_cmp_ne_u32_e64 s[10:11], 1, v3
	s_andn2_b64 vcc, exec, s[18:19]
	s_cbranch_vccnz .LBB61_24
; %bb.23:
	v_add_u32_e32 v5, s17, v5
	v_mov_b32_e32 v6, 0
	v_lshlrev_b64 v[5:6], 1, v[5:6]
	v_mov_b32_e32 v3, s25
	v_add_co_u32_e32 v5, vcc, s24, v5
	v_addc_co_u32_e32 v6, vcc, v3, v6, vcc
	global_load_ushort v3, v[5:6], off
	s_waitcnt vmcnt(0)
	v_lshlrev_b32_e32 v17, 16, v3
.LBB61_24:
	s_and_b64 vcc, exec, s[4:5]
	s_cbranch_vccnz .LBB61_26
; %bb.25:
	v_add_u32_e32 v5, 2, v4
	v_add_u32_e32 v3, 2, v1
	s_cbranch_execz .LBB61_27
	s_branch .LBB61_28
.LBB61_26:
                                        ; implicit-def: $vgpr5
	v_add_u32_e32 v3, 2, v1
.LBB61_27:
	v_mad_u64_u32 v[5:6], s[18:19], v3, s14, v[0:1]
.LBB61_28:
	s_and_b64 vcc, exec, s[6:7]
	s_cbranch_vccnz .LBB61_30
; %bb.29:
	v_mad_u64_u32 v[6:7], s[18:19], v3, s15, v[0:1]
	s_cbranch_execz .LBB61_31
	s_branch .LBB61_32
.LBB61_30:
                                        ; implicit-def: $vgpr6
.LBB61_31:
	v_add_u32_e32 v6, 2, v2
.LBB61_32:
	v_mov_b32_e32 v18, 0
	s_and_b64 vcc, exec, s[8:9]
	v_mov_b32_e32 v7, 0
	s_cbranch_vccnz .LBB61_34
; %bb.33:
	v_add_u32_e32 v19, s17, v5
	v_mov_b32_e32 v20, 0
	v_lshlrev_b64 v[19:20], 1, v[19:20]
	v_mov_b32_e32 v3, s23
	v_add_co_u32_e32 v19, vcc, s22, v19
	v_addc_co_u32_e32 v20, vcc, v3, v20, vcc
	global_load_ushort v3, v[19:20], off
	s_waitcnt vmcnt(0)
	v_lshlrev_b32_e32 v7, 16, v3
.LBB61_34:
	s_and_b64 vcc, exec, s[10:11]
	s_cbranch_vccnz .LBB61_36
; %bb.35:
	v_add_u32_e32 v5, s17, v6
	v_mov_b32_e32 v6, 0
	v_lshlrev_b64 v[5:6], 1, v[5:6]
	v_mov_b32_e32 v3, s25
	v_add_co_u32_e32 v5, vcc, s24, v5
	v_addc_co_u32_e32 v6, vcc, v3, v6, vcc
	global_load_ushort v3, v[5:6], off
	s_waitcnt vmcnt(0)
	v_lshlrev_b32_e32 v18, 16, v3
.LBB61_36:
	s_and_b64 vcc, exec, s[4:5]
	s_cbranch_vccnz .LBB61_38
; %bb.37:
	v_add_u32_e32 v3, 3, v4
	v_add_u32_e32 v1, 3, v1
	s_cbranch_execz .LBB61_39
	s_branch .LBB61_40
.LBB61_38:
                                        ; implicit-def: $vgpr3
	v_add_u32_e32 v1, 3, v1
.LBB61_39:
	v_mad_u64_u32 v[3:4], s[4:5], v1, s14, v[0:1]
.LBB61_40:
	s_and_b64 vcc, exec, s[6:7]
	s_cbranch_vccnz .LBB61_42
; %bb.41:
	v_mad_u64_u32 v[4:5], s[4:5], v1, s15, v[0:1]
	s_cbranch_execz .LBB61_43
	s_branch .LBB61_44
.LBB61_42:
                                        ; implicit-def: $vgpr4
.LBB61_43:
	v_add_u32_e32 v4, 3, v2
.LBB61_44:
	v_mov_b32_e32 v5, 0
	s_and_b64 vcc, exec, s[8:9]
	v_mov_b32_e32 v2, 0
	s_cbranch_vccnz .LBB61_46
; %bb.45:
	v_add_u32_e32 v1, s17, v3
	v_mov_b32_e32 v2, 0
	v_lshlrev_b64 v[1:2], 1, v[1:2]
	v_mov_b32_e32 v3, s23
	v_add_co_u32_e32 v1, vcc, s22, v1
	v_addc_co_u32_e32 v2, vcc, v3, v2, vcc
	global_load_ushort v1, v[1:2], off
	s_waitcnt vmcnt(0)
	v_lshlrev_b32_e32 v2, 16, v1
.LBB61_46:
	s_and_b64 vcc, exec, s[10:11]
	s_cbranch_vccnz .LBB61_48
; %bb.47:
	v_add_u32_e32 v3, s17, v4
	v_mov_b32_e32 v4, 0
	v_lshlrev_b64 v[3:4], 1, v[3:4]
	v_mov_b32_e32 v1, s25
	v_add_co_u32_e32 v3, vcc, s24, v3
	v_addc_co_u32_e32 v4, vcc, v1, v4, vcc
	global_load_ushort v1, v[3:4], off
	s_waitcnt vmcnt(0)
	v_lshlrev_b32_e32 v5, 16, v1
.LBB61_48:
	s_waitcnt vmcnt(0)
	v_mul_f32_e32 v1, v13, v15
	v_fmac_f32_e32 v1, v11, v14
	s_mov_b32 s4, 0x7f800000
	v_and_b32_e32 v3, 0x7f800000, v1
	v_cmp_ne_u32_e32 vcc, s4, v3
                                        ; implicit-def: $vgpr3
	s_and_saveexec_b64 s[4:5], vcc
	s_xor_b64 s[4:5], exec, s[4:5]
; %bb.49:
	v_bfe_u32 v3, v1, 16, 1
	s_movk_i32 s6, 0x7fff
	v_add3_u32 v3, v1, v3, s6
                                        ; implicit-def: $vgpr1
; %bb.50:
	s_andn2_saveexec_b64 s[4:5], s[4:5]
; %bb.51:
	v_mov_b32_e32 v3, 0
	v_or_b32_e32 v4, 0x10000, v1
	v_cmp_eq_u32_sdwa vcc, v1, v3 src0_sel:WORD_0 src1_sel:DWORD
	v_cndmask_b32_e32 v3, v4, v1, vcc
; %bb.52:
	s_or_b64 exec, exec, s[4:5]
	s_load_dwordx2 s[4:5], s[26:27], 0x4
	v_mul_f32_e32 v4, v13, v17
	v_fmac_f32_e32 v4, v11, v16
	v_and_b32_e32 v14, 0x7f800000, v4
	v_lshrrev_b32_e32 v3, 16, v3
	s_waitcnt lgkmcnt(0)
	s_lshr_b32 s4, s4, 16
	s_mul_i32 s4, s4, s5
	v_mul_lo_u32 v1, s4, v42
	s_mov_b32 s4, 0x7f800000
	v_cmp_ne_u32_e32 vcc, s4, v14
                                        ; implicit-def: $vgpr14
	v_mad_u32_u24 v6, v43, s5, v1
	v_add_lshl_u32 v6, v6, v41, 3
	ds_write_b16 v6, v3
	s_and_saveexec_b64 s[6:7], vcc
	s_xor_b64 s[6:7], exec, s[6:7]
; %bb.53:
	v_bfe_u32 v14, v4, 16, 1
	s_movk_i32 s4, 0x7fff
	v_add3_u32 v14, v4, v14, s4
                                        ; implicit-def: $vgpr4
; %bb.54:
	s_andn2_saveexec_b64 s[6:7], s[6:7]
; %bb.55:
	v_mov_b32_e32 v14, 0
	v_or_b32_e32 v15, 0x10000, v4
	v_cmp_eq_u32_sdwa vcc, v4, v14 src0_sel:WORD_0 src1_sel:DWORD
	v_cndmask_b32_e32 v14, v15, v4, vcc
; %bb.56:
	s_or_b64 exec, exec, s[6:7]
	v_lshrrev_b32_e32 v4, 16, v14
	v_mul_f32_e32 v14, v13, v18
	v_fmac_f32_e32 v14, v11, v7
	s_mov_b32 s4, 0x7f800000
	v_and_b32_e32 v7, 0x7f800000, v14
	v_cmp_ne_u32_e32 vcc, s4, v7
	ds_write_b16 v6, v4 offset:2
                                        ; implicit-def: $vgpr7
	s_and_saveexec_b64 s[6:7], vcc
	s_xor_b64 s[6:7], exec, s[6:7]
; %bb.57:
	v_bfe_u32 v7, v14, 16, 1
	s_movk_i32 s4, 0x7fff
	v_add3_u32 v7, v14, v7, s4
                                        ; implicit-def: $vgpr14
; %bb.58:
	s_andn2_saveexec_b64 s[6:7], s[6:7]
; %bb.59:
	v_mov_b32_e32 v7, 0
	v_or_b32_e32 v15, 0x10000, v14
	v_cmp_eq_u32_sdwa vcc, v14, v7 src0_sel:WORD_0 src1_sel:DWORD
	v_cndmask_b32_e32 v7, v15, v14, vcc
; %bb.60:
	s_or_b64 exec, exec, s[6:7]
	v_mul_f32_e32 v5, v13, v5
	v_fmac_f32_e32 v5, v11, v2
	s_mov_b32 s4, 0x7f800000
	v_and_b32_e32 v2, 0x7f800000, v5
	v_lshrrev_b32_e32 v7, 16, v7
	v_cmp_ne_u32_e32 vcc, s4, v2
	ds_write_b16 v6, v7 offset:4
                                        ; implicit-def: $vgpr11
	s_and_saveexec_b64 s[6:7], vcc
	s_xor_b64 s[6:7], exec, s[6:7]
; %bb.61:
	v_bfe_u32 v2, v5, 16, 1
	s_movk_i32 s4, 0x7fff
	v_add3_u32 v11, v5, v2, s4
                                        ; implicit-def: $vgpr5
; %bb.62:
	s_andn2_saveexec_b64 s[6:7], s[6:7]
; %bb.63:
	v_mov_b32_e32 v2, 0
	v_or_b32_e32 v11, 0x10000, v5
	v_cmp_eq_u32_sdwa vcc, v5, v2 src0_sel:WORD_0 src1_sel:DWORD
	v_cndmask_b32_e32 v11, v11, v5, vcc
; %bb.64:
	s_or_b64 exec, exec, s[6:7]
	v_mul_lo_u32 v2, v0, s16
	v_lshrrev_b32_e32 v0, 16, v11
	v_cmp_ge_u32_e32 vcc, s12, v12
	ds_write_b16 v6, v0 offset:6
	s_and_saveexec_b64 s[6:7], vcc
	s_xor_b64 s[6:7], exec, s[6:7]
	s_cbranch_execz .LBB61_66
; %bb.65:
	v_add_u32_e32 v1, s17, v10
	v_sub_u32_e32 v1, v1, v9
	v_add_u32_e32 v1, v1, v2
	v_mov_b32_e32 v2, 0
	v_lshlrev_b64 v[5:6], 1, v[1:2]
	v_mov_b32_e32 v8, s21
	v_add_co_u32_e32 v5, vcc, s20, v5
	v_addc_co_u32_e32 v6, vcc, v8, v6, vcc
	global_store_short v[5:6], v3, off
	v_add_u32_e32 v5, 1, v1
	v_mov_b32_e32 v6, v2
	v_lshlrev_b64 v[5:6], 1, v[5:6]
	v_mov_b32_e32 v3, s21
	v_add_co_u32_e32 v5, vcc, s20, v5
	v_addc_co_u32_e32 v6, vcc, v3, v6, vcc
	global_store_short v[5:6], v4, off
	v_add_u32_e32 v3, 2, v1
	v_mov_b32_e32 v4, v2
	v_lshlrev_b64 v[3:4], 1, v[3:4]
	v_add_u32_e32 v1, 3, v1
	v_mov_b32_e32 v5, s21
	v_add_co_u32_e32 v3, vcc, s20, v3
	v_lshlrev_b64 v[1:2], 1, v[1:2]
	v_addc_co_u32_e32 v4, vcc, v5, v4, vcc
	global_store_short v[3:4], v7, off
	v_mov_b32_e32 v3, s21
	v_add_co_u32_e32 v1, vcc, s20, v1
	v_addc_co_u32_e32 v2, vcc, v3, v2, vcc
	global_store_short v[1:2], v0, off
                                        ; implicit-def: $vgpr9
                                        ; implicit-def: $vgpr43
                                        ; implicit-def: $vgpr8
                                        ; implicit-def: $vgpr2
                                        ; implicit-def: $vgpr41
                                        ; implicit-def: $vgpr1
                                        ; implicit-def: $vgpr42
.LBB61_66:
	s_andn2_saveexec_b64 s[6:7], s[6:7]
	s_cbranch_execz .LBB61_70
; %bb.67:
	v_cmp_gt_u32_e32 vcc, 4, v9
	s_and_b64 exec, exec, vcc
	s_cbranch_execz .LBB61_70
; %bb.68:
	v_mul_u32_u24_e32 v4, s5, v43
	v_lshl_or_b32 v0, s34, 6, v8
	s_lshl_b32 s4, s13, 6
	v_subrev_u32_e32 v3, s4, v0
	v_add3_u32 v0, s17, v2, v0
	v_add3_u32 v1, v4, v41, v1
	v_and_b32_e32 v2, 15, v42
	v_add_u32_e32 v5, 4, v3
	v_add_lshl_u32 v1, v1, v2, 3
	v_min_u32_e32 v5, s12, v5
	v_subrev_u32_e32 v0, s4, v0
	v_lshl_add_u32 v1, s34, 7, v1
	s_lshl_b32 s4, s13, 7
	v_subrev_u32_e32 v1, s4, v1
	v_lshlrev_b32_e32 v2, 1, v5
	v_sub_u32_e32 v3, v3, v5
	v_sub_u32_e32 v1, v1, v2
	v_add_u32_e32 v3, 3, v3
	v_add_u32_e32 v2, 8, v1
	s_mov_b64 s[6:7], 0
	v_mov_b32_e32 v1, 0
	v_mov_b32_e32 v4, s21
.LBB61_69:                              ; =>This Inner Loop Header: Depth=1
	ds_read_u16 v7, v2
	v_lshlrev_b64 v[5:6], 1, v[0:1]
	v_add_u32_e32 v3, 1, v3
	v_cmp_lt_u32_e32 vcc, 2, v3
	v_add_co_u32_e64 v5, s[4:5], s20, v5
	v_add_u32_e32 v0, 1, v0
	v_add_u32_e32 v2, 2, v2
	v_addc_co_u32_e64 v6, s[4:5], v4, v6, s[4:5]
	s_or_b64 s[6:7], vcc, s[6:7]
	s_waitcnt lgkmcnt(0)
	global_store_short v[5:6], v7, off
	s_andn2_b64 exec, exec, s[6:7]
	s_cbranch_execnz .LBB61_69
.LBB61_70:
	s_endpgm
	.section	.rodata,"a",@progbits
	.p2align	6, 0x0
	.amdhsa_kernel Transform_BF16_S_010_16_16_VW_4
		.amdhsa_group_segment_fixed_size 8192
		.amdhsa_private_segment_fixed_size 64
		.amdhsa_kernarg_size 344
		.amdhsa_user_sgpr_count 10
		.amdhsa_user_sgpr_private_segment_buffer 1
		.amdhsa_user_sgpr_dispatch_ptr 1
		.amdhsa_user_sgpr_queue_ptr 0
		.amdhsa_user_sgpr_kernarg_segment_ptr 1
		.amdhsa_user_sgpr_dispatch_id 0
		.amdhsa_user_sgpr_flat_scratch_init 1
		.amdhsa_user_sgpr_private_segment_size 0
		.amdhsa_uses_dynamic_stack 0
		.amdhsa_system_sgpr_private_segment_wavefront_offset 1
		.amdhsa_system_sgpr_workgroup_id_x 1
		.amdhsa_system_sgpr_workgroup_id_y 0
		.amdhsa_system_sgpr_workgroup_id_z 1
		.amdhsa_system_sgpr_workgroup_info 0
		.amdhsa_system_vgpr_workitem_id 2
		.amdhsa_next_free_vgpr 44
		.amdhsa_next_free_sgpr 36
		.amdhsa_reserve_vcc 1
		.amdhsa_reserve_flat_scratch 1
		.amdhsa_float_round_mode_32 0
		.amdhsa_float_round_mode_16_64 0
		.amdhsa_float_denorm_mode_32 3
		.amdhsa_float_denorm_mode_16_64 3
		.amdhsa_dx10_clamp 1
		.amdhsa_ieee_mode 1
		.amdhsa_fp16_overflow 0
		.amdhsa_exception_fp_ieee_invalid_op 0
		.amdhsa_exception_fp_denorm_src 0
		.amdhsa_exception_fp_ieee_div_zero 0
		.amdhsa_exception_fp_ieee_overflow 0
		.amdhsa_exception_fp_ieee_underflow 0
		.amdhsa_exception_fp_ieee_inexact 0
		.amdhsa_exception_int_div_zero 0
	.end_amdhsa_kernel
	.text
.Lfunc_end61:
	.size	Transform_BF16_S_010_16_16_VW_4, .Lfunc_end61-Transform_BF16_S_010_16_16_VW_4
                                        ; -- End function
	.set Transform_BF16_S_010_16_16_VW_4.num_vgpr, max(44, .L__assert_fail.num_vgpr)
	.set Transform_BF16_S_010_16_16_VW_4.num_agpr, max(0, .L__assert_fail.num_agpr)
	.set Transform_BF16_S_010_16_16_VW_4.numbered_sgpr, max(36, .L__assert_fail.numbered_sgpr)
	.set Transform_BF16_S_010_16_16_VW_4.num_named_barrier, max(0, .L__assert_fail.num_named_barrier)
	.set Transform_BF16_S_010_16_16_VW_4.private_seg_size, 0+max(.L__assert_fail.private_seg_size)
	.set Transform_BF16_S_010_16_16_VW_4.uses_vcc, or(1, .L__assert_fail.uses_vcc)
	.set Transform_BF16_S_010_16_16_VW_4.uses_flat_scratch, or(1, .L__assert_fail.uses_flat_scratch)
	.set Transform_BF16_S_010_16_16_VW_4.has_dyn_sized_stack, or(0, .L__assert_fail.has_dyn_sized_stack)
	.set Transform_BF16_S_010_16_16_VW_4.has_recursion, or(0, .L__assert_fail.has_recursion)
	.set Transform_BF16_S_010_16_16_VW_4.has_indirect_call, or(0, .L__assert_fail.has_indirect_call)
	.section	.AMDGPU.csdata,"",@progbits
; Kernel info:
; codeLenInByte = 2096
; TotalNumSgprs: 42
; NumVgprs: 44
; ScratchSize: 64
; MemoryBound: 0
; FloatMode: 240
; IeeeMode: 1
; LDSByteSize: 8192 bytes/workgroup (compile time only)
; SGPRBlocks: 5
; VGPRBlocks: 10
; NumSGPRsForWavesPerEU: 42
; NumVGPRsForWavesPerEU: 44
; Occupancy: 5
; WaveLimiterHint : 1
; COMPUTE_PGM_RSRC2:SCRATCH_EN: 1
; COMPUTE_PGM_RSRC2:USER_SGPR: 10
; COMPUTE_PGM_RSRC2:TRAP_HANDLER: 0
; COMPUTE_PGM_RSRC2:TGID_X_EN: 1
; COMPUTE_PGM_RSRC2:TGID_Y_EN: 0
; COMPUTE_PGM_RSRC2:TGID_Z_EN: 1
; COMPUTE_PGM_RSRC2:TIDIG_COMP_CNT: 2
	.text
	.protected	Transform_BF16_S_001_16_16_VW_1 ; -- Begin function Transform_BF16_S_001_16_16_VW_1
	.globl	Transform_BF16_S_001_16_16_VW_1
	.p2align	8
	.type	Transform_BF16_S_001_16_16_VW_1,@function
Transform_BF16_S_001_16_16_VW_1:        ; @Transform_BF16_S_001_16_16_VW_1
; %bb.0:
	s_mov_b64 s[26:27], s[4:5]
	s_load_dword s4, s[4:5], 0x64
	s_add_u32 flat_scratch_lo, s6, s10
	s_addc_u32 flat_scratch_hi, s7, 0
	s_add_u32 s0, s0, s10
	s_addc_u32 s1, s1, 0
	s_waitcnt lgkmcnt(0)
	s_and_b32 s4, s4, 0xffff
	s_mov_b32 s28, s9
	s_mov_b32 s29, s8
	v_mov_b32_e32 v41, v0
	s_cmpk_eq_i32 s4, 0x100
	s_mov_b64 s[4:5], -1
	s_mov_b32 s32, 0
	s_cbranch_scc1 .LBB62_2
; %bb.1:
	s_add_u32 s8, s26, 0x58
	s_addc_u32 s9, s27, 0
	s_getpc_b64 s[4:5]
	s_add_u32 s4, s4, __PRETTY_FUNCTION__._ZN10amd_detail9transformI12hip_bfloat16fLb0ELb0ELb1ELj16ELj16ELj1EEEvPT_PKS2_S5_T0_PKS6_S6_S8_jjjjjjbb@rel32@lo+4
	s_addc_u32 s5, s5, __PRETTY_FUNCTION__._ZN10amd_detail9transformI12hip_bfloat16fLb0ELb0ELb1ELj16ELj16ELj1EEEvPT_PKS2_S5_T0_PKS6_S6_S8_jjjjjjbb@rel32@hi+12
	s_getpc_b64 s[6:7]
	s_add_u32 s6, s6, __assert_fail@rel32@lo+4
	s_addc_u32 s7, s7, __assert_fail@rel32@hi+12
	v_mov_b32_e32 v0, s4
	v_mov_b32_e32 v1, s5
	s_swappc_b64 s[30:31], s[6:7]
	s_mov_b64 s[4:5], 0
	; divergent unreachable
.LBB62_2:
	s_andn2_b64 vcc, exec, s[4:5]
	s_cbranch_vccnz .LBB62_17
; %bb.3:
	s_load_dwordx8 s[4:11], s[26:27], 0x38
	s_waitcnt lgkmcnt(0)
	s_lshr_b32 s11, s4, 4
	s_and_b32 s12, s4, 15
	s_cmp_lg_u32 s12, 0
	s_cselect_b64 s[12:13], -1, 0
	s_cmp_lg_u64 s[12:13], 0
	s_addc_u32 s11, s11, 0
	v_cvt_f32_u32_e32 v0, s11
	s_load_dword s15, s[26:27], 0x18
	s_load_dwordx2 s[12:13], s[26:27], 0x20
	s_sub_i32 s14, 0, s11
	v_rcp_iflag_f32_e32 v0, v0
	s_waitcnt lgkmcnt(0)
	v_mov_b32_e32 v2, s15
	v_mul_f32_e32 v0, 0x4f7ffffe, v0
	v_cvt_u32_f32_e32 v0, v0
	v_readfirstlane_b32 s16, v0
	s_mul_i32 s14, s14, s16
	s_mul_hi_u32 s14, s16, s14
	s_add_i32 s16, s16, s14
	s_mul_hi_u32 s14, s29, s16
	s_cmp_eq_u64 s[12:13], 0
	s_cbranch_scc1 .LBB62_5
; %bb.4:
	v_mov_b32_e32 v0, 0
	global_load_dword v2, v0, s[12:13]
.LBB62_5:
	s_load_dwordx2 s[12:13], s[26:27], 0x30
	s_load_dword s15, s[26:27], 0x28
	s_waitcnt lgkmcnt(0)
	s_cmp_eq_u64 s[12:13], 0
	v_mov_b32_e32 v3, s15
	s_cbranch_scc1 .LBB62_7
; %bb.6:
	v_mov_b32_e32 v0, 0
	global_load_dword v3, v0, s[12:13]
.LBB62_7:
	s_mul_i32 s12, s14, s11
	s_sub_i32 s12, s29, s12
	s_add_i32 s13, s14, 1
	s_sub_i32 s15, s12, s11
	s_cmp_ge_u32 s12, s11
	s_cselect_b32 s13, s13, s14
	s_cselect_b32 s12, s15, s12
	s_add_i32 s14, s13, 1
	s_cmp_ge_u32 s12, s11
	s_cselect_b32 s12, s14, s13
	s_mul_i32 s11, s12, s11
	s_sub_i32 s11, s29, s11
	v_and_b32_e32 v0, 15, v41
	v_lshrrev_b32_e32 v4, 4, v41
	v_lshl_or_b32 v1, s11, 4, v0
	v_lshl_add_u32 v0, s12, 4, v4
	v_cmp_gt_u32_e32 vcc, s4, v1
	v_cmp_gt_u32_e64 s[4:5], s5, v0
	s_and_b64 s[4:5], vcc, s[4:5]
	s_and_saveexec_b64 s[12:13], s[4:5]
	s_cbranch_execz .LBB62_17
; %bb.8:
	s_load_dwordx4 s[12:15], s[26:27], 0x0
	s_load_dwordx2 s[4:5], s[26:27], 0x10
	s_mul_i32 s9, s9, s28
	v_mov_b32_e32 v5, 0
	v_mov_b32_e32 v4, 0
	s_waitcnt lgkmcnt(0)
	s_cmp_eq_u64 s[14:15], 0
	s_cbranch_scc1 .LBB62_10
; %bb.9:
	s_bitcmp1_b32 s10, 0
	s_cselect_b64 vcc, -1, 0
	v_cndmask_b32_e32 v4, v0, v1, vcc
	v_mul_lo_u32 v4, v4, s6
	v_cndmask_b32_e32 v6, v1, v0, vcc
	v_mov_b32_e32 v7, 0
	v_add3_u32 v6, v6, s9, v4
	v_lshlrev_b64 v[6:7], 1, v[6:7]
	v_mov_b32_e32 v4, s15
	v_add_co_u32_e32 v6, vcc, s14, v6
	v_addc_co_u32_e32 v7, vcc, v4, v7, vcc
	global_load_ushort v4, v[6:7], off
	s_waitcnt vmcnt(0)
	v_lshlrev_b32_e32 v4, 16, v4
.LBB62_10:
	s_cmp_eq_u64 s[4:5], 0
	s_cbranch_scc1 .LBB62_12
; %bb.11:
	s_load_dword s6, s[26:27], 0x50
	v_mov_b32_e32 v6, 0
	v_mov_b32_e32 v7, s5
	s_waitcnt lgkmcnt(0)
	s_bitcmp1_b32 s6, 8
	s_cselect_b64 vcc, -1, 0
	v_cndmask_b32_e32 v5, v0, v1, vcc
	v_mul_lo_u32 v5, v5, s7
	v_cndmask_b32_e32 v8, v1, v0, vcc
	v_add3_u32 v5, v8, s9, v5
	v_lshlrev_b64 v[5:6], 1, v[5:6]
	v_add_co_u32_e32 v5, vcc, s4, v5
	v_addc_co_u32_e32 v6, vcc, v7, v6, vcc
	global_load_ushort v5, v[5:6], off
	s_waitcnt vmcnt(0)
	v_lshlrev_b32_e32 v5, 16, v5
.LBB62_12:
	s_waitcnt vmcnt(0)
	v_mul_f32_e32 v3, v3, v5
	v_fmac_f32_e32 v3, v2, v4
	s_mov_b32 s4, 0x7f800000
	v_and_b32_e32 v2, 0x7f800000, v3
	v_cmp_ne_u32_e32 vcc, s4, v2
                                        ; implicit-def: $vgpr2
	s_and_saveexec_b64 s[4:5], vcc
	s_xor_b64 s[4:5], exec, s[4:5]
; %bb.13:
	v_bfe_u32 v2, v3, 16, 1
	s_movk_i32 s6, 0x7fff
	v_add3_u32 v2, v3, v2, s6
                                        ; implicit-def: $vgpr3
; %bb.14:
	s_andn2_saveexec_b64 s[4:5], s[4:5]
; %bb.15:
	v_mov_b32_e32 v2, 0
	v_or_b32_e32 v4, 0x10000, v3
	v_cmp_eq_u32_sdwa vcc, v3, v2 src0_sel:WORD_0 src1_sel:DWORD
	v_cndmask_b32_e32 v2, v4, v3, vcc
; %bb.16:
	s_or_b64 exec, exec, s[4:5]
	v_mul_lo_u32 v3, v1, s8
	v_mov_b32_e32 v1, 0
	v_mov_b32_e32 v4, s13
	v_add3_u32 v0, v0, s9, v3
	v_lshlrev_b64 v[0:1], 1, v[0:1]
	v_add_co_u32_e32 v0, vcc, s12, v0
	v_addc_co_u32_e32 v1, vcc, v4, v1, vcc
	global_store_short_d16_hi v[0:1], v2, off
.LBB62_17:
	s_endpgm
	.section	.rodata,"a",@progbits
	.p2align	6, 0x0
	.amdhsa_kernel Transform_BF16_S_001_16_16_VW_1
		.amdhsa_group_segment_fixed_size 0
		.amdhsa_private_segment_fixed_size 64
		.amdhsa_kernarg_size 344
		.amdhsa_user_sgpr_count 8
		.amdhsa_user_sgpr_private_segment_buffer 1
		.amdhsa_user_sgpr_dispatch_ptr 0
		.amdhsa_user_sgpr_queue_ptr 0
		.amdhsa_user_sgpr_kernarg_segment_ptr 1
		.amdhsa_user_sgpr_dispatch_id 0
		.amdhsa_user_sgpr_flat_scratch_init 1
		.amdhsa_user_sgpr_private_segment_size 0
		.amdhsa_uses_dynamic_stack 0
		.amdhsa_system_sgpr_private_segment_wavefront_offset 1
		.amdhsa_system_sgpr_workgroup_id_x 1
		.amdhsa_system_sgpr_workgroup_id_y 0
		.amdhsa_system_sgpr_workgroup_id_z 1
		.amdhsa_system_sgpr_workgroup_info 0
		.amdhsa_system_vgpr_workitem_id 0
		.amdhsa_next_free_vgpr 42
		.amdhsa_next_free_sgpr 34
		.amdhsa_reserve_vcc 1
		.amdhsa_reserve_flat_scratch 1
		.amdhsa_float_round_mode_32 0
		.amdhsa_float_round_mode_16_64 0
		.amdhsa_float_denorm_mode_32 3
		.amdhsa_float_denorm_mode_16_64 3
		.amdhsa_dx10_clamp 1
		.amdhsa_ieee_mode 1
		.amdhsa_fp16_overflow 0
		.amdhsa_exception_fp_ieee_invalid_op 0
		.amdhsa_exception_fp_denorm_src 0
		.amdhsa_exception_fp_ieee_div_zero 0
		.amdhsa_exception_fp_ieee_overflow 0
		.amdhsa_exception_fp_ieee_underflow 0
		.amdhsa_exception_fp_ieee_inexact 0
		.amdhsa_exception_int_div_zero 0
	.end_amdhsa_kernel
	.text
.Lfunc_end62:
	.size	Transform_BF16_S_001_16_16_VW_1, .Lfunc_end62-Transform_BF16_S_001_16_16_VW_1
                                        ; -- End function
	.set Transform_BF16_S_001_16_16_VW_1.num_vgpr, max(42, .L__assert_fail.num_vgpr)
	.set Transform_BF16_S_001_16_16_VW_1.num_agpr, max(0, .L__assert_fail.num_agpr)
	.set Transform_BF16_S_001_16_16_VW_1.numbered_sgpr, max(33, .L__assert_fail.numbered_sgpr)
	.set Transform_BF16_S_001_16_16_VW_1.num_named_barrier, max(0, .L__assert_fail.num_named_barrier)
	.set Transform_BF16_S_001_16_16_VW_1.private_seg_size, 0+max(.L__assert_fail.private_seg_size)
	.set Transform_BF16_S_001_16_16_VW_1.uses_vcc, or(1, .L__assert_fail.uses_vcc)
	.set Transform_BF16_S_001_16_16_VW_1.uses_flat_scratch, or(1, .L__assert_fail.uses_flat_scratch)
	.set Transform_BF16_S_001_16_16_VW_1.has_dyn_sized_stack, or(0, .L__assert_fail.has_dyn_sized_stack)
	.set Transform_BF16_S_001_16_16_VW_1.has_recursion, or(0, .L__assert_fail.has_recursion)
	.set Transform_BF16_S_001_16_16_VW_1.has_indirect_call, or(0, .L__assert_fail.has_indirect_call)
	.section	.AMDGPU.csdata,"",@progbits
; Kernel info:
; codeLenInByte = 756
; TotalNumSgprs: 40
; NumVgprs: 42
; ScratchSize: 64
; MemoryBound: 0
; FloatMode: 240
; IeeeMode: 1
; LDSByteSize: 0 bytes/workgroup (compile time only)
; SGPRBlocks: 4
; VGPRBlocks: 10
; NumSGPRsForWavesPerEU: 40
; NumVGPRsForWavesPerEU: 42
; Occupancy: 5
; WaveLimiterHint : 1
; COMPUTE_PGM_RSRC2:SCRATCH_EN: 1
; COMPUTE_PGM_RSRC2:USER_SGPR: 8
; COMPUTE_PGM_RSRC2:TRAP_HANDLER: 0
; COMPUTE_PGM_RSRC2:TGID_X_EN: 1
; COMPUTE_PGM_RSRC2:TGID_Y_EN: 0
; COMPUTE_PGM_RSRC2:TGID_Z_EN: 1
; COMPUTE_PGM_RSRC2:TIDIG_COMP_CNT: 0
	.text
	.protected	Transform_BF16_S_001_16_16_VW_4 ; -- Begin function Transform_BF16_S_001_16_16_VW_4
	.globl	Transform_BF16_S_001_16_16_VW_4
	.p2align	8
	.type	Transform_BF16_S_001_16_16_VW_4,@function
Transform_BF16_S_001_16_16_VW_4:        ; @Transform_BF16_S_001_16_16_VW_4
; %bb.0:
	s_mov_b64 s[26:27], s[4:5]
	s_load_dword s4, s[6:7], 0x64
	s_add_u32 flat_scratch_lo, s8, s12
	s_addc_u32 flat_scratch_hi, s9, 0
	s_add_u32 s0, s0, s12
	s_addc_u32 s1, s1, 0
	s_waitcnt lgkmcnt(0)
	s_and_b32 s4, s4, 0xffff
	s_mov_b32 s35, s11
	s_mov_b32 s34, s10
	s_mov_b64 s[28:29], s[6:7]
	v_mov_b32_e32 v41, v2
	v_mov_b32_e32 v43, v1
	;; [unrolled: 1-line block ×3, first 2 shown]
	s_cmpk_eq_i32 s4, 0x100
	s_mov_b64 s[4:5], -1
	s_mov_b32 s32, 0
	s_cbranch_scc1 .LBB63_2
; %bb.1:
	s_add_u32 s8, s28, 0x58
	s_addc_u32 s9, s29, 0
	s_getpc_b64 s[4:5]
	s_add_u32 s4, s4, __PRETTY_FUNCTION__._ZN10amd_detail9transformI12hip_bfloat16fLb0ELb0ELb1ELj16ELj16ELj4EEEvPT_PKS2_S5_T0_PKS6_S6_S8_jjjjjjbb@rel32@lo+4
	s_addc_u32 s5, s5, __PRETTY_FUNCTION__._ZN10amd_detail9transformI12hip_bfloat16fLb0ELb0ELb1ELj16ELj16ELj4EEEvPT_PKS2_S5_T0_PKS6_S6_S8_jjjjjjbb@rel32@hi+12
	s_getpc_b64 s[6:7]
	s_add_u32 s6, s6, __assert_fail@rel32@lo+4
	s_addc_u32 s7, s7, __assert_fail@rel32@hi+12
	v_mov_b32_e32 v0, s4
	v_mov_b32_e32 v1, s5
	s_swappc_b64 s[30:31], s[6:7]
	s_mov_b64 s[4:5], 0
	; divergent unreachable
.LBB63_2:
	s_andn2_b64 vcc, exec, s[4:5]
	s_cbranch_vccnz .LBB63_70
; %bb.3:
	s_load_dwordx4 s[12:15], s[28:29], 0x38
	s_waitcnt lgkmcnt(0)
	s_lshr_b32 s6, s12, 4
	s_and_b32 s4, s12, 15
	s_cmp_lg_u32 s4, 0
	s_cselect_b64 s[4:5], -1, 0
	s_cmp_lg_u64 s[4:5], 0
	s_addc_u32 s6, s6, 0
	v_cvt_f32_u32_e32 v0, s6
	s_load_dword s8, s[28:29], 0x18
	s_load_dwordx2 s[4:5], s[28:29], 0x20
	s_sub_i32 s7, 0, s6
	v_rcp_iflag_f32_e32 v0, v0
	s_waitcnt lgkmcnt(0)
	v_mov_b32_e32 v13, s8
	v_mul_f32_e32 v0, 0x4f7ffffe, v0
	v_cvt_u32_f32_e32 v0, v0
	v_readfirstlane_b32 s9, v0
	s_mul_i32 s7, s7, s9
	s_mul_hi_u32 s7, s9, s7
	s_add_i32 s9, s9, s7
	s_mul_hi_u32 s7, s34, s9
	s_cmp_eq_u64 s[4:5], 0
	s_cbranch_scc1 .LBB63_5
; %bb.4:
	v_mov_b32_e32 v0, 0
	global_load_dword v13, v0, s[4:5]
.LBB63_5:
	s_load_dwordx2 s[4:5], s[28:29], 0x30
	s_load_dword s8, s[28:29], 0x28
	s_waitcnt lgkmcnt(0)
	s_cmp_eq_u64 s[4:5], 0
	v_mov_b32_e32 v14, s8
	s_cbranch_scc1 .LBB63_7
; %bb.6:
	v_mov_b32_e32 v0, 0
	global_load_dword v14, v0, s[4:5]
.LBB63_7:
	s_mul_i32 s4, s7, s6
	s_sub_i32 s4, s34, s4
	s_add_i32 s5, s7, 1
	s_sub_i32 s8, s4, s6
	s_cmp_ge_u32 s4, s6
	s_cselect_b32 s5, s5, s7
	s_cselect_b32 s4, s8, s4
	s_add_i32 s7, s5, 1
	s_cmp_ge_u32 s4, s6
	s_cselect_b32 s30, s7, s5
	s_mul_i32 s31, s30, s6
	s_sub_i32 s4, s34, s31
	v_and_b32_e32 v8, 15, v42
	v_lshl_or_b32 v0, s4, 4, v8
	v_cmp_gt_u32_e32 vcc, s12, v0
	s_and_saveexec_b64 s[4:5], vcc
	s_cbranch_execz .LBB63_70
; %bb.8:
	v_lshrrev_b32_e32 v1, 2, v42
	s_lshl_b32 s12, s30, 6
	v_and_b32_e32 v10, 0xfc, v1
	s_load_dwordx4 s[20:23], s[28:29], 0x48
	v_add_u32_e32 v9, s12, v10
	v_add_u32_e32 v12, 4, v9
	v_sub_u32_e64 v11, v12, s13 clamp
	s_load_dwordx4 s[16:19], s[28:29], 0x0
	s_load_dwordx2 s[24:25], s[28:29], 0x10
	v_sub_u32_e32 v4, v9, v11
	v_mad_u64_u32 v[1:2], s[4:5], v0, s14, v[4:5]
	s_waitcnt lgkmcnt(0)
	s_bitcmp1_b32 s22, 0
	s_cselect_b64 vcc, -1, 0
	s_cmp_lg_u64 s[18:19], 0
	s_mul_i32 s21, s21, s35
	s_cselect_b64 s[10:11], -1, 0
	s_cmp_eq_u64 s[18:19], 0
	v_mov_b32_e32 v16, 0
	v_mov_b32_e32 v15, 0
	s_cbranch_scc1 .LBB63_10
; %bb.9:
	v_mad_u64_u32 v[2:3], s[4:5], v4, s14, v[0:1]
	v_mov_b32_e32 v3, 0
	v_mov_b32_e32 v5, s19
	v_cndmask_b32_e32 v2, v2, v1, vcc
	v_add_u32_e32 v2, s21, v2
	v_lshlrev_b64 v[2:3], 1, v[2:3]
	v_add_co_u32_e64 v2, s[4:5], s18, v2
	v_addc_co_u32_e64 v3, s[4:5], v5, v3, s[4:5]
	global_load_ushort v2, v[2:3], off
	s_waitcnt vmcnt(0)
	v_lshlrev_b32_e32 v15, 16, v2
.LBB63_10:
	s_load_dword s6, s[28:29], 0x50
	s_xor_b64 s[8:9], vcc, -1
	v_mad_u64_u32 v[2:3], s[4:5], v0, s15, v[4:5]
	s_waitcnt lgkmcnt(0)
	s_bitcmp1_b32 s6, 8
	s_cselect_b64 s[6:7], -1, 0
	s_cmp_lg_u64 s[24:25], 0
	s_cselect_b64 s[22:23], -1, 0
	s_cmp_eq_u64 s[24:25], 0
	s_cbranch_scc1 .LBB63_12
; %bb.11:
	v_mad_u64_u32 v[5:6], s[4:5], v4, s15, v[0:1]
	v_mov_b32_e32 v6, 0
	v_mov_b32_e32 v3, s25
	v_cndmask_b32_e64 v5, v5, v2, s[6:7]
	v_add_u32_e32 v5, s21, v5
	v_lshlrev_b64 v[5:6], 1, v[5:6]
	v_add_co_u32_e32 v5, vcc, s24, v5
	v_addc_co_u32_e32 v6, vcc, v3, v6, vcc
	global_load_ushort v3, v[5:6], off
	s_waitcnt vmcnt(0)
	v_lshlrev_b32_e32 v16, 16, v3
.LBB63_12:
	v_cndmask_b32_e64 v3, 0, 1, s[8:9]
	v_cmp_ne_u32_e64 s[4:5], 1, v3
	s_andn2_b64 vcc, exec, s[8:9]
	s_cbranch_vccnz .LBB63_14
; %bb.13:
	v_mul_lo_u32 v3, s14, v4
	v_add3_u32 v3, v3, s14, v0
	s_xor_b64 s[8:9], s[6:7], -1
	s_cbranch_execz .LBB63_15
	s_branch .LBB63_16
.LBB63_14:
                                        ; implicit-def: $vgpr3
	s_xor_b64 s[8:9], s[6:7], -1
.LBB63_15:
	v_add_u32_e32 v3, 1, v1
.LBB63_16:
	v_cndmask_b32_e64 v5, 0, 1, s[8:9]
	v_cmp_ne_u32_e64 s[6:7], 1, v5
	s_andn2_b64 vcc, exec, s[8:9]
	s_cbranch_vccnz .LBB63_18
; %bb.17:
	v_mul_lo_u32 v5, s15, v4
	v_add3_u32 v5, v5, s15, v0
	s_cbranch_execz .LBB63_19
	s_branch .LBB63_20
.LBB63_18:
                                        ; implicit-def: $vgpr5
.LBB63_19:
	v_add_u32_e32 v5, 1, v2
.LBB63_20:
	v_cndmask_b32_e64 v6, 0, 1, s[10:11]
	v_mov_b32_e32 v18, 0
	v_cmp_ne_u32_e64 s[8:9], 1, v6
	s_andn2_b64 vcc, exec, s[10:11]
	v_mov_b32_e32 v17, 0
	s_cbranch_vccnz .LBB63_22
; %bb.21:
	v_add_u32_e32 v6, s21, v3
	v_mov_b32_e32 v7, 0
	v_lshlrev_b64 v[6:7], 1, v[6:7]
	v_mov_b32_e32 v3, s19
	v_add_co_u32_e32 v6, vcc, s18, v6
	v_addc_co_u32_e32 v7, vcc, v3, v7, vcc
	global_load_ushort v3, v[6:7], off
	s_waitcnt vmcnt(0)
	v_lshlrev_b32_e32 v17, 16, v3
.LBB63_22:
	v_cndmask_b32_e64 v3, 0, 1, s[22:23]
	v_cmp_ne_u32_e64 s[10:11], 1, v3
	s_andn2_b64 vcc, exec, s[22:23]
	s_cbranch_vccnz .LBB63_24
; %bb.23:
	v_add_u32_e32 v5, s21, v5
	v_mov_b32_e32 v6, 0
	v_lshlrev_b64 v[5:6], 1, v[5:6]
	v_mov_b32_e32 v3, s25
	v_add_co_u32_e32 v5, vcc, s24, v5
	v_addc_co_u32_e32 v6, vcc, v3, v6, vcc
	global_load_ushort v3, v[5:6], off
	s_waitcnt vmcnt(0)
	v_lshlrev_b32_e32 v18, 16, v3
.LBB63_24:
	s_and_b64 vcc, exec, s[4:5]
	v_add_u32_e32 v3, 2, v4
	s_cbranch_vccnz .LBB63_26
; %bb.25:
	v_mad_u64_u32 v[5:6], s[22:23], v3, s14, v[0:1]
	s_cbranch_execz .LBB63_27
	s_branch .LBB63_28
.LBB63_26:
                                        ; implicit-def: $vgpr5
.LBB63_27:
	v_add_u32_e32 v5, 2, v1
.LBB63_28:
	s_and_b64 vcc, exec, s[6:7]
	s_cbranch_vccnz .LBB63_30
; %bb.29:
	v_mad_u64_u32 v[6:7], s[22:23], v3, s15, v[0:1]
	s_cbranch_execz .LBB63_31
	s_branch .LBB63_32
.LBB63_30:
                                        ; implicit-def: $vgpr6
.LBB63_31:
	v_add_u32_e32 v6, 2, v2
.LBB63_32:
	v_mov_b32_e32 v19, 0
	s_and_b64 vcc, exec, s[8:9]
	v_mov_b32_e32 v7, 0
	s_cbranch_vccnz .LBB63_34
; %bb.33:
	v_add_u32_e32 v20, s21, v5
	v_mov_b32_e32 v21, 0
	v_lshlrev_b64 v[20:21], 1, v[20:21]
	v_mov_b32_e32 v3, s19
	v_add_co_u32_e32 v20, vcc, s18, v20
	v_addc_co_u32_e32 v21, vcc, v3, v21, vcc
	global_load_ushort v3, v[20:21], off
	s_waitcnt vmcnt(0)
	v_lshlrev_b32_e32 v7, 16, v3
.LBB63_34:
	s_and_b64 vcc, exec, s[10:11]
	s_cbranch_vccnz .LBB63_36
; %bb.35:
	v_add_u32_e32 v5, s21, v6
	v_mov_b32_e32 v6, 0
	v_lshlrev_b64 v[5:6], 1, v[5:6]
	v_mov_b32_e32 v3, s25
	v_add_co_u32_e32 v5, vcc, s24, v5
	v_addc_co_u32_e32 v6, vcc, v3, v6, vcc
	global_load_ushort v3, v[5:6], off
	s_waitcnt vmcnt(0)
	v_lshlrev_b32_e32 v19, 16, v3
.LBB63_36:
	s_and_b64 vcc, exec, s[4:5]
	v_add_u32_e32 v5, 3, v4
	s_cbranch_vccnz .LBB63_38
; %bb.37:
	v_mad_u64_u32 v[3:4], s[4:5], v5, s14, v[0:1]
	s_cbranch_execz .LBB63_39
	s_branch .LBB63_40
.LBB63_38:
                                        ; implicit-def: $vgpr3
.LBB63_39:
	v_add_u32_e32 v3, 3, v1
.LBB63_40:
	s_and_b64 vcc, exec, s[6:7]
	s_cbranch_vccnz .LBB63_42
; %bb.41:
	v_mad_u64_u32 v[4:5], s[4:5], v5, s15, v[0:1]
	s_cbranch_execz .LBB63_43
	s_branch .LBB63_44
.LBB63_42:
                                        ; implicit-def: $vgpr4
.LBB63_43:
	v_add_u32_e32 v4, 3, v2
.LBB63_44:
	v_mov_b32_e32 v5, 0
	s_and_b64 vcc, exec, s[8:9]
	v_mov_b32_e32 v2, 0
	s_cbranch_vccnz .LBB63_46
; %bb.45:
	v_add_u32_e32 v1, s21, v3
	v_mov_b32_e32 v2, 0
	v_lshlrev_b64 v[1:2], 1, v[1:2]
	v_mov_b32_e32 v3, s19
	v_add_co_u32_e32 v1, vcc, s18, v1
	v_addc_co_u32_e32 v2, vcc, v3, v2, vcc
	global_load_ushort v1, v[1:2], off
	s_waitcnt vmcnt(0)
	v_lshlrev_b32_e32 v2, 16, v1
.LBB63_46:
	s_and_b64 vcc, exec, s[10:11]
	s_cbranch_vccnz .LBB63_48
; %bb.47:
	v_add_u32_e32 v3, s21, v4
	v_mov_b32_e32 v4, 0
	v_lshlrev_b64 v[3:4], 1, v[3:4]
	v_mov_b32_e32 v1, s25
	v_add_co_u32_e32 v3, vcc, s24, v3
	v_addc_co_u32_e32 v4, vcc, v1, v4, vcc
	global_load_ushort v1, v[3:4], off
	s_waitcnt vmcnt(0)
	v_lshlrev_b32_e32 v5, 16, v1
.LBB63_48:
	s_waitcnt vmcnt(0)
	v_mul_f32_e32 v1, v14, v16
	v_fmac_f32_e32 v1, v13, v15
	s_mov_b32 s4, 0x7f800000
	v_and_b32_e32 v3, 0x7f800000, v1
	v_cmp_ne_u32_e32 vcc, s4, v3
                                        ; implicit-def: $vgpr3
	s_and_saveexec_b64 s[4:5], vcc
	s_xor_b64 s[4:5], exec, s[4:5]
; %bb.49:
	v_bfe_u32 v3, v1, 16, 1
	s_movk_i32 s6, 0x7fff
	v_add3_u32 v3, v1, v3, s6
                                        ; implicit-def: $vgpr1
; %bb.50:
	s_andn2_saveexec_b64 s[4:5], s[4:5]
; %bb.51:
	v_mov_b32_e32 v3, 0
	v_or_b32_e32 v4, 0x10000, v1
	v_cmp_eq_u32_sdwa vcc, v1, v3 src0_sel:WORD_0 src1_sel:DWORD
	v_cndmask_b32_e32 v3, v4, v1, vcc
; %bb.52:
	s_or_b64 exec, exec, s[4:5]
	s_load_dwordx2 s[4:5], s[26:27], 0x4
	v_mul_f32_e32 v4, v14, v18
	v_fmac_f32_e32 v4, v13, v17
	v_and_b32_e32 v15, 0x7f800000, v4
	v_lshrrev_b32_e32 v3, 16, v3
	s_waitcnt lgkmcnt(0)
	s_lshr_b32 s4, s4, 16
	s_mul_i32 s4, s4, s5
	v_mul_lo_u32 v1, s4, v42
	s_mov_b32 s4, 0x7f800000
	v_cmp_ne_u32_e32 vcc, s4, v15
                                        ; implicit-def: $vgpr15
	v_mad_u32_u24 v6, v43, s5, v1
	v_add_lshl_u32 v6, v6, v41, 3
	ds_write_b16 v6, v3
	s_and_saveexec_b64 s[6:7], vcc
	s_xor_b64 s[6:7], exec, s[6:7]
; %bb.53:
	v_bfe_u32 v15, v4, 16, 1
	s_movk_i32 s4, 0x7fff
	v_add3_u32 v15, v4, v15, s4
                                        ; implicit-def: $vgpr4
; %bb.54:
	s_andn2_saveexec_b64 s[6:7], s[6:7]
; %bb.55:
	v_mov_b32_e32 v15, 0
	v_or_b32_e32 v16, 0x10000, v4
	v_cmp_eq_u32_sdwa vcc, v4, v15 src0_sel:WORD_0 src1_sel:DWORD
	v_cndmask_b32_e32 v15, v16, v4, vcc
; %bb.56:
	s_or_b64 exec, exec, s[6:7]
	v_lshrrev_b32_e32 v4, 16, v15
	v_mul_f32_e32 v15, v14, v19
	v_fmac_f32_e32 v15, v13, v7
	s_mov_b32 s4, 0x7f800000
	v_and_b32_e32 v7, 0x7f800000, v15
	v_cmp_ne_u32_e32 vcc, s4, v7
	ds_write_b16 v6, v4 offset:2
                                        ; implicit-def: $vgpr7
	s_and_saveexec_b64 s[6:7], vcc
	s_xor_b64 s[6:7], exec, s[6:7]
; %bb.57:
	v_bfe_u32 v7, v15, 16, 1
	s_movk_i32 s4, 0x7fff
	v_add3_u32 v7, v15, v7, s4
                                        ; implicit-def: $vgpr15
; %bb.58:
	s_andn2_saveexec_b64 s[6:7], s[6:7]
; %bb.59:
	v_mov_b32_e32 v7, 0
	v_or_b32_e32 v16, 0x10000, v15
	v_cmp_eq_u32_sdwa vcc, v15, v7 src0_sel:WORD_0 src1_sel:DWORD
	v_cndmask_b32_e32 v7, v16, v15, vcc
; %bb.60:
	s_or_b64 exec, exec, s[6:7]
	v_mul_f32_e32 v5, v14, v5
	v_fmac_f32_e32 v5, v13, v2
	s_mov_b32 s4, 0x7f800000
	v_and_b32_e32 v2, 0x7f800000, v5
	v_lshrrev_b32_e32 v7, 16, v7
	v_cmp_ne_u32_e32 vcc, s4, v2
	ds_write_b16 v6, v7 offset:4
                                        ; implicit-def: $vgpr2
	s_and_saveexec_b64 s[6:7], vcc
	s_xor_b64 s[6:7], exec, s[6:7]
; %bb.61:
	v_bfe_u32 v2, v5, 16, 1
	s_movk_i32 s4, 0x7fff
	v_add3_u32 v2, v5, v2, s4
                                        ; implicit-def: $vgpr5
; %bb.62:
	s_andn2_saveexec_b64 s[6:7], s[6:7]
; %bb.63:
	v_mov_b32_e32 v2, 0
	v_or_b32_e32 v13, 0x10000, v5
	v_cmp_eq_u32_sdwa vcc, v5, v2 src0_sel:WORD_0 src1_sel:DWORD
	v_cndmask_b32_e32 v2, v13, v5, vcc
; %bb.64:
	s_or_b64 exec, exec, s[6:7]
	v_lshrrev_b32_e32 v2, 16, v2
	v_cmp_ge_u32_e32 vcc, s13, v12
	ds_write_b16 v6, v2 offset:6
	s_and_saveexec_b64 s[6:7], vcc
	s_xor_b64 s[6:7], exec, s[6:7]
	s_cbranch_execz .LBB63_66
; %bb.65:
	v_mul_lo_u32 v0, v0, s20
	v_mov_b32_e32 v1, 0
	v_mov_b32_e32 v8, s17
                                        ; implicit-def: $vgpr10
                                        ; implicit-def: $vgpr12
                                        ; implicit-def: $vgpr42
                                        ; implicit-def: $vgpr43
                                        ; implicit-def: $vgpr41
	v_add3_u32 v0, v9, s21, v0
	v_sub_u32_e32 v0, v0, v11
	v_lshlrev_b64 v[5:6], 1, v[0:1]
                                        ; implicit-def: $vgpr9
                                        ; implicit-def: $vgpr11
	v_add_co_u32_e32 v5, vcc, s16, v5
	v_addc_co_u32_e32 v6, vcc, v8, v6, vcc
	global_store_short v[5:6], v3, off
	v_add_u32_e32 v5, 1, v0
	v_mov_b32_e32 v6, v1
	v_lshlrev_b64 v[5:6], 1, v[5:6]
	v_mov_b32_e32 v3, s17
	v_add_co_u32_e32 v5, vcc, s16, v5
	v_addc_co_u32_e32 v6, vcc, v3, v6, vcc
	global_store_short v[5:6], v4, off
	v_add_u32_e32 v3, 2, v0
	v_mov_b32_e32 v4, v1
	v_lshlrev_b64 v[3:4], 1, v[3:4]
	v_add_u32_e32 v0, 3, v0
	v_mov_b32_e32 v5, s17
	v_add_co_u32_e32 v3, vcc, s16, v3
	v_lshlrev_b64 v[0:1], 1, v[0:1]
	v_addc_co_u32_e32 v4, vcc, v5, v4, vcc
	global_store_short v[3:4], v7, off
	v_mov_b32_e32 v3, s17
	v_add_co_u32_e32 v0, vcc, s16, v0
	v_addc_co_u32_e32 v1, vcc, v3, v1, vcc
	global_store_short v[0:1], v2, off
                                        ; implicit-def: $vgpr8
                                        ; implicit-def: $vgpr1
.LBB63_66:
	s_andn2_saveexec_b64 s[6:7], s[6:7]
	s_cbranch_execz .LBB63_70
; %bb.67:
	v_cmp_gt_u32_e32 vcc, 4, v11
	s_and_b64 exec, exec, vcc
	s_cbranch_execz .LBB63_70
; %bb.68:
	v_lshl_or_b32 v0, s34, 4, v8
	s_lshl_b32 s4, s31, 4
	v_mul_u32_u24_e32 v3, s5, v43
	v_subrev_u32_e32 v0, s4, v0
	v_lshrrev_b32_e32 v5, 4, v42
	v_mul_lo_u32 v0, s20, v0
	v_add3_u32 v3, v3, v41, v5
	v_min_u32_e32 v4, s13, v12
	v_add_lshl_u32 v1, v3, v1, 3
	v_lshl_add_u32 v1, s30, 7, v1
	v_lshlrev_b32_e32 v3, 1, v4
	v_sub_u32_e32 v2, v9, v4
	s_add_i32 s12, s12, s21
	v_sub_u32_e32 v1, v1, v3
	v_add_u32_e32 v2, 3, v2
	v_add3_u32 v0, s12, v0, v10
	v_add_u32_e32 v3, 8, v1
	s_mov_b64 s[6:7], 0
	v_mov_b32_e32 v1, 0
	v_mov_b32_e32 v4, s17
.LBB63_69:                              ; =>This Inner Loop Header: Depth=1
	ds_read_u16 v7, v3
	v_lshlrev_b64 v[5:6], 1, v[0:1]
	v_add_u32_e32 v2, 1, v2
	v_cmp_lt_u32_e32 vcc, 2, v2
	v_add_co_u32_e64 v5, s[4:5], s16, v5
	v_add_u32_e32 v0, 1, v0
	v_add_u32_e32 v3, 2, v3
	v_addc_co_u32_e64 v6, s[4:5], v4, v6, s[4:5]
	s_or_b64 s[6:7], vcc, s[6:7]
	s_waitcnt lgkmcnt(0)
	global_store_short v[5:6], v7, off
	s_andn2_b64 exec, exec, s[6:7]
	s_cbranch_execnz .LBB63_69
.LBB63_70:
	s_endpgm
	.section	.rodata,"a",@progbits
	.p2align	6, 0x0
	.amdhsa_kernel Transform_BF16_S_001_16_16_VW_4
		.amdhsa_group_segment_fixed_size 8192
		.amdhsa_private_segment_fixed_size 64
		.amdhsa_kernarg_size 344
		.amdhsa_user_sgpr_count 10
		.amdhsa_user_sgpr_private_segment_buffer 1
		.amdhsa_user_sgpr_dispatch_ptr 1
		.amdhsa_user_sgpr_queue_ptr 0
		.amdhsa_user_sgpr_kernarg_segment_ptr 1
		.amdhsa_user_sgpr_dispatch_id 0
		.amdhsa_user_sgpr_flat_scratch_init 1
		.amdhsa_user_sgpr_private_segment_size 0
		.amdhsa_uses_dynamic_stack 0
		.amdhsa_system_sgpr_private_segment_wavefront_offset 1
		.amdhsa_system_sgpr_workgroup_id_x 1
		.amdhsa_system_sgpr_workgroup_id_y 0
		.amdhsa_system_sgpr_workgroup_id_z 1
		.amdhsa_system_sgpr_workgroup_info 0
		.amdhsa_system_vgpr_workitem_id 2
		.amdhsa_next_free_vgpr 44
		.amdhsa_next_free_sgpr 36
		.amdhsa_reserve_vcc 1
		.amdhsa_reserve_flat_scratch 1
		.amdhsa_float_round_mode_32 0
		.amdhsa_float_round_mode_16_64 0
		.amdhsa_float_denorm_mode_32 3
		.amdhsa_float_denorm_mode_16_64 3
		.amdhsa_dx10_clamp 1
		.amdhsa_ieee_mode 1
		.amdhsa_fp16_overflow 0
		.amdhsa_exception_fp_ieee_invalid_op 0
		.amdhsa_exception_fp_denorm_src 0
		.amdhsa_exception_fp_ieee_div_zero 0
		.amdhsa_exception_fp_ieee_overflow 0
		.amdhsa_exception_fp_ieee_underflow 0
		.amdhsa_exception_fp_ieee_inexact 0
		.amdhsa_exception_int_div_zero 0
	.end_amdhsa_kernel
	.text
.Lfunc_end63:
	.size	Transform_BF16_S_001_16_16_VW_4, .Lfunc_end63-Transform_BF16_S_001_16_16_VW_4
                                        ; -- End function
	.set Transform_BF16_S_001_16_16_VW_4.num_vgpr, max(44, .L__assert_fail.num_vgpr)
	.set Transform_BF16_S_001_16_16_VW_4.num_agpr, max(0, .L__assert_fail.num_agpr)
	.set Transform_BF16_S_001_16_16_VW_4.numbered_sgpr, max(36, .L__assert_fail.numbered_sgpr)
	.set Transform_BF16_S_001_16_16_VW_4.num_named_barrier, max(0, .L__assert_fail.num_named_barrier)
	.set Transform_BF16_S_001_16_16_VW_4.private_seg_size, 0+max(.L__assert_fail.private_seg_size)
	.set Transform_BF16_S_001_16_16_VW_4.uses_vcc, or(1, .L__assert_fail.uses_vcc)
	.set Transform_BF16_S_001_16_16_VW_4.uses_flat_scratch, or(1, .L__assert_fail.uses_flat_scratch)
	.set Transform_BF16_S_001_16_16_VW_4.has_dyn_sized_stack, or(0, .L__assert_fail.has_dyn_sized_stack)
	.set Transform_BF16_S_001_16_16_VW_4.has_recursion, or(0, .L__assert_fail.has_recursion)
	.set Transform_BF16_S_001_16_16_VW_4.has_indirect_call, or(0, .L__assert_fail.has_indirect_call)
	.section	.AMDGPU.csdata,"",@progbits
; Kernel info:
; codeLenInByte = 2096
; TotalNumSgprs: 42
; NumVgprs: 44
; ScratchSize: 64
; MemoryBound: 0
; FloatMode: 240
; IeeeMode: 1
; LDSByteSize: 8192 bytes/workgroup (compile time only)
; SGPRBlocks: 5
; VGPRBlocks: 10
; NumSGPRsForWavesPerEU: 42
; NumVGPRsForWavesPerEU: 44
; Occupancy: 5
; WaveLimiterHint : 1
; COMPUTE_PGM_RSRC2:SCRATCH_EN: 1
; COMPUTE_PGM_RSRC2:USER_SGPR: 10
; COMPUTE_PGM_RSRC2:TRAP_HANDLER: 0
; COMPUTE_PGM_RSRC2:TGID_X_EN: 1
; COMPUTE_PGM_RSRC2:TGID_Y_EN: 0
; COMPUTE_PGM_RSRC2:TGID_Z_EN: 1
; COMPUTE_PGM_RSRC2:TIDIG_COMP_CNT: 2
	.text
	.protected	Transform_BF16_S_000_16_16_VW_1 ; -- Begin function Transform_BF16_S_000_16_16_VW_1
	.globl	Transform_BF16_S_000_16_16_VW_1
	.p2align	8
	.type	Transform_BF16_S_000_16_16_VW_1,@function
Transform_BF16_S_000_16_16_VW_1:        ; @Transform_BF16_S_000_16_16_VW_1
; %bb.0:
	s_mov_b64 s[26:27], s[4:5]
	s_load_dword s4, s[4:5], 0x64
	s_add_u32 flat_scratch_lo, s6, s10
	s_addc_u32 flat_scratch_hi, s7, 0
	s_add_u32 s0, s0, s10
	s_addc_u32 s1, s1, 0
	s_waitcnt lgkmcnt(0)
	s_and_b32 s4, s4, 0xffff
	s_mov_b32 s28, s9
	s_mov_b32 s29, s8
	v_mov_b32_e32 v41, v0
	s_cmpk_eq_i32 s4, 0x100
	s_mov_b64 s[4:5], -1
	s_mov_b32 s32, 0
	s_cbranch_scc1 .LBB64_2
; %bb.1:
	s_add_u32 s8, s26, 0x58
	s_addc_u32 s9, s27, 0
	s_getpc_b64 s[4:5]
	s_add_u32 s4, s4, __PRETTY_FUNCTION__._ZN10amd_detail9transformI12hip_bfloat16fLb0ELb0ELb0ELj16ELj16ELj1EEEvPT_PKS2_S5_T0_PKS6_S6_S8_jjjjjjbb@rel32@lo+4
	s_addc_u32 s5, s5, __PRETTY_FUNCTION__._ZN10amd_detail9transformI12hip_bfloat16fLb0ELb0ELb0ELj16ELj16ELj1EEEvPT_PKS2_S5_T0_PKS6_S6_S8_jjjjjjbb@rel32@hi+12
	s_getpc_b64 s[6:7]
	s_add_u32 s6, s6, __assert_fail@rel32@lo+4
	s_addc_u32 s7, s7, __assert_fail@rel32@hi+12
	v_mov_b32_e32 v0, s4
	v_mov_b32_e32 v1, s5
	s_swappc_b64 s[30:31], s[6:7]
	s_mov_b64 s[4:5], 0
	; divergent unreachable
.LBB64_2:
	s_andn2_b64 vcc, exec, s[4:5]
	s_cbranch_vccnz .LBB64_17
; %bb.3:
	s_load_dwordx8 s[4:11], s[26:27], 0x38
	s_waitcnt lgkmcnt(0)
	s_lshr_b32 s11, s4, 4
	s_and_b32 s12, s4, 15
	s_cmp_lg_u32 s12, 0
	s_cselect_b64 s[12:13], -1, 0
	s_cmp_lg_u64 s[12:13], 0
	s_addc_u32 s11, s11, 0
	v_cvt_f32_u32_e32 v0, s11
	s_load_dword s15, s[26:27], 0x18
	s_load_dwordx2 s[12:13], s[26:27], 0x20
	s_sub_i32 s14, 0, s11
	v_rcp_iflag_f32_e32 v0, v0
	s_waitcnt lgkmcnt(0)
	v_mov_b32_e32 v1, s15
	v_mul_f32_e32 v0, 0x4f7ffffe, v0
	v_cvt_u32_f32_e32 v0, v0
	v_readfirstlane_b32 s16, v0
	s_mul_i32 s14, s14, s16
	s_mul_hi_u32 s14, s16, s14
	s_add_i32 s16, s16, s14
	s_mul_hi_u32 s14, s29, s16
	s_cmp_eq_u64 s[12:13], 0
	s_cbranch_scc1 .LBB64_5
; %bb.4:
	v_mov_b32_e32 v0, 0
	global_load_dword v1, v0, s[12:13]
.LBB64_5:
	s_load_dwordx2 s[12:13], s[26:27], 0x30
	s_load_dword s15, s[26:27], 0x28
	s_waitcnt lgkmcnt(0)
	s_cmp_eq_u64 s[12:13], 0
	v_mov_b32_e32 v3, s15
	s_cbranch_scc1 .LBB64_7
; %bb.6:
	v_mov_b32_e32 v0, 0
	global_load_dword v3, v0, s[12:13]
.LBB64_7:
	s_mul_i32 s12, s14, s11
	s_sub_i32 s12, s29, s12
	s_add_i32 s13, s14, 1
	s_sub_i32 s15, s12, s11
	s_cmp_ge_u32 s12, s11
	s_cselect_b32 s13, s13, s14
	s_cselect_b32 s12, s15, s12
	s_add_i32 s14, s13, 1
	s_cmp_ge_u32 s12, s11
	s_cselect_b32 s12, s14, s13
	s_mul_i32 s11, s12, s11
	s_sub_i32 s11, s29, s11
	v_and_b32_e32 v0, 15, v41
	v_lshrrev_b32_e32 v2, 4, v41
	v_lshl_or_b32 v0, s11, 4, v0
	v_lshl_add_u32 v2, s12, 4, v2
	v_cmp_gt_u32_e32 vcc, s4, v0
	v_cmp_gt_u32_e64 s[4:5], s5, v2
	s_and_b64 s[4:5], vcc, s[4:5]
	s_and_saveexec_b64 s[12:13], s[4:5]
	s_cbranch_execz .LBB64_17
; %bb.8:
	s_load_dwordx4 s[12:15], s[26:27], 0x0
	s_load_dwordx2 s[4:5], s[26:27], 0x10
	s_mul_i32 s9, s9, s28
	v_mov_b32_e32 v5, 0
	v_mov_b32_e32 v4, 0
	s_waitcnt lgkmcnt(0)
	s_cmp_eq_u64 s[14:15], 0
	s_cbranch_scc1 .LBB64_10
; %bb.9:
	s_bitcmp1_b32 s10, 0
	s_cselect_b64 vcc, -1, 0
	v_cndmask_b32_e32 v4, v2, v0, vcc
	v_mul_lo_u32 v4, v4, s6
	v_cndmask_b32_e32 v6, v0, v2, vcc
	v_mov_b32_e32 v7, 0
	v_add3_u32 v6, v6, s9, v4
	v_lshlrev_b64 v[6:7], 1, v[6:7]
	v_mov_b32_e32 v4, s15
	v_add_co_u32_e32 v6, vcc, s14, v6
	v_addc_co_u32_e32 v7, vcc, v4, v7, vcc
	global_load_ushort v4, v[6:7], off
	s_waitcnt vmcnt(0)
	v_lshlrev_b32_e32 v4, 16, v4
.LBB64_10:
	s_cmp_eq_u64 s[4:5], 0
	s_cbranch_scc1 .LBB64_12
; %bb.11:
	s_load_dword s6, s[26:27], 0x50
	v_mov_b32_e32 v6, 0
	v_mov_b32_e32 v7, s5
	s_waitcnt lgkmcnt(0)
	s_bitcmp1_b32 s6, 8
	s_cselect_b64 vcc, -1, 0
	v_cndmask_b32_e32 v5, v2, v0, vcc
	v_mul_lo_u32 v5, v5, s7
	v_cndmask_b32_e32 v8, v0, v2, vcc
	v_add3_u32 v5, v8, s9, v5
	v_lshlrev_b64 v[5:6], 1, v[5:6]
	v_add_co_u32_e32 v5, vcc, s4, v5
	v_addc_co_u32_e32 v6, vcc, v7, v6, vcc
	global_load_ushort v5, v[5:6], off
	s_waitcnt vmcnt(0)
	v_lshlrev_b32_e32 v5, 16, v5
.LBB64_12:
	s_waitcnt vmcnt(0)
	v_mul_f32_e32 v3, v3, v5
	v_fmac_f32_e32 v3, v1, v4
	s_mov_b32 s4, 0x7f800000
	v_and_b32_e32 v1, 0x7f800000, v3
	v_cmp_ne_u32_e32 vcc, s4, v1
                                        ; implicit-def: $vgpr1
	s_and_saveexec_b64 s[4:5], vcc
	s_xor_b64 s[4:5], exec, s[4:5]
; %bb.13:
	v_bfe_u32 v1, v3, 16, 1
	s_movk_i32 s6, 0x7fff
	v_add3_u32 v1, v3, v1, s6
                                        ; implicit-def: $vgpr3
; %bb.14:
	s_andn2_saveexec_b64 s[4:5], s[4:5]
; %bb.15:
	v_mov_b32_e32 v1, 0
	v_or_b32_e32 v4, 0x10000, v3
	v_cmp_eq_u32_sdwa vcc, v3, v1 src0_sel:WORD_0 src1_sel:DWORD
	v_cndmask_b32_e32 v1, v4, v3, vcc
; %bb.16:
	s_or_b64 exec, exec, s[4:5]
	v_mul_lo_u32 v2, v2, s8
	v_mov_b32_e32 v3, 0
	v_mov_b32_e32 v4, s13
	v_add3_u32 v2, v0, s9, v2
	v_lshlrev_b64 v[2:3], 1, v[2:3]
	v_add_co_u32_e32 v2, vcc, s12, v2
	v_addc_co_u32_e32 v3, vcc, v4, v3, vcc
	global_store_short_d16_hi v[2:3], v1, off
.LBB64_17:
	s_endpgm
	.section	.rodata,"a",@progbits
	.p2align	6, 0x0
	.amdhsa_kernel Transform_BF16_S_000_16_16_VW_1
		.amdhsa_group_segment_fixed_size 0
		.amdhsa_private_segment_fixed_size 64
		.amdhsa_kernarg_size 344
		.amdhsa_user_sgpr_count 8
		.amdhsa_user_sgpr_private_segment_buffer 1
		.amdhsa_user_sgpr_dispatch_ptr 0
		.amdhsa_user_sgpr_queue_ptr 0
		.amdhsa_user_sgpr_kernarg_segment_ptr 1
		.amdhsa_user_sgpr_dispatch_id 0
		.amdhsa_user_sgpr_flat_scratch_init 1
		.amdhsa_user_sgpr_private_segment_size 0
		.amdhsa_uses_dynamic_stack 0
		.amdhsa_system_sgpr_private_segment_wavefront_offset 1
		.amdhsa_system_sgpr_workgroup_id_x 1
		.amdhsa_system_sgpr_workgroup_id_y 0
		.amdhsa_system_sgpr_workgroup_id_z 1
		.amdhsa_system_sgpr_workgroup_info 0
		.amdhsa_system_vgpr_workitem_id 0
		.amdhsa_next_free_vgpr 42
		.amdhsa_next_free_sgpr 34
		.amdhsa_reserve_vcc 1
		.amdhsa_reserve_flat_scratch 1
		.amdhsa_float_round_mode_32 0
		.amdhsa_float_round_mode_16_64 0
		.amdhsa_float_denorm_mode_32 3
		.amdhsa_float_denorm_mode_16_64 3
		.amdhsa_dx10_clamp 1
		.amdhsa_ieee_mode 1
		.amdhsa_fp16_overflow 0
		.amdhsa_exception_fp_ieee_invalid_op 0
		.amdhsa_exception_fp_denorm_src 0
		.amdhsa_exception_fp_ieee_div_zero 0
		.amdhsa_exception_fp_ieee_overflow 0
		.amdhsa_exception_fp_ieee_underflow 0
		.amdhsa_exception_fp_ieee_inexact 0
		.amdhsa_exception_int_div_zero 0
	.end_amdhsa_kernel
	.text
.Lfunc_end64:
	.size	Transform_BF16_S_000_16_16_VW_1, .Lfunc_end64-Transform_BF16_S_000_16_16_VW_1
                                        ; -- End function
	.set Transform_BF16_S_000_16_16_VW_1.num_vgpr, max(42, .L__assert_fail.num_vgpr)
	.set Transform_BF16_S_000_16_16_VW_1.num_agpr, max(0, .L__assert_fail.num_agpr)
	.set Transform_BF16_S_000_16_16_VW_1.numbered_sgpr, max(33, .L__assert_fail.numbered_sgpr)
	.set Transform_BF16_S_000_16_16_VW_1.num_named_barrier, max(0, .L__assert_fail.num_named_barrier)
	.set Transform_BF16_S_000_16_16_VW_1.private_seg_size, 0+max(.L__assert_fail.private_seg_size)
	.set Transform_BF16_S_000_16_16_VW_1.uses_vcc, or(1, .L__assert_fail.uses_vcc)
	.set Transform_BF16_S_000_16_16_VW_1.uses_flat_scratch, or(1, .L__assert_fail.uses_flat_scratch)
	.set Transform_BF16_S_000_16_16_VW_1.has_dyn_sized_stack, or(0, .L__assert_fail.has_dyn_sized_stack)
	.set Transform_BF16_S_000_16_16_VW_1.has_recursion, or(0, .L__assert_fail.has_recursion)
	.set Transform_BF16_S_000_16_16_VW_1.has_indirect_call, or(0, .L__assert_fail.has_indirect_call)
	.section	.AMDGPU.csdata,"",@progbits
; Kernel info:
; codeLenInByte = 756
; TotalNumSgprs: 40
; NumVgprs: 42
; ScratchSize: 64
; MemoryBound: 0
; FloatMode: 240
; IeeeMode: 1
; LDSByteSize: 0 bytes/workgroup (compile time only)
; SGPRBlocks: 4
; VGPRBlocks: 10
; NumSGPRsForWavesPerEU: 40
; NumVGPRsForWavesPerEU: 42
; Occupancy: 5
; WaveLimiterHint : 1
; COMPUTE_PGM_RSRC2:SCRATCH_EN: 1
; COMPUTE_PGM_RSRC2:USER_SGPR: 8
; COMPUTE_PGM_RSRC2:TRAP_HANDLER: 0
; COMPUTE_PGM_RSRC2:TGID_X_EN: 1
; COMPUTE_PGM_RSRC2:TGID_Y_EN: 0
; COMPUTE_PGM_RSRC2:TGID_Z_EN: 1
; COMPUTE_PGM_RSRC2:TIDIG_COMP_CNT: 0
	.text
	.protected	Transform_BF16_S_000_16_16_VW_4 ; -- Begin function Transform_BF16_S_000_16_16_VW_4
	.globl	Transform_BF16_S_000_16_16_VW_4
	.p2align	8
	.type	Transform_BF16_S_000_16_16_VW_4,@function
Transform_BF16_S_000_16_16_VW_4:        ; @Transform_BF16_S_000_16_16_VW_4
; %bb.0:
	s_mov_b64 s[26:27], s[4:5]
	s_load_dword s4, s[6:7], 0x64
	s_add_u32 flat_scratch_lo, s8, s12
	s_addc_u32 flat_scratch_hi, s9, 0
	s_add_u32 s0, s0, s12
	s_addc_u32 s1, s1, 0
	s_waitcnt lgkmcnt(0)
	s_and_b32 s4, s4, 0xffff
	s_mov_b32 s35, s11
	s_mov_b32 s34, s10
	s_mov_b64 s[28:29], s[6:7]
	v_mov_b32_e32 v41, v2
	v_mov_b32_e32 v43, v1
	;; [unrolled: 1-line block ×3, first 2 shown]
	s_cmpk_eq_i32 s4, 0x100
	s_mov_b64 s[4:5], -1
	s_mov_b32 s32, 0
	s_cbranch_scc1 .LBB65_2
; %bb.1:
	s_add_u32 s8, s28, 0x58
	s_addc_u32 s9, s29, 0
	s_getpc_b64 s[4:5]
	s_add_u32 s4, s4, __PRETTY_FUNCTION__._ZN10amd_detail9transformI12hip_bfloat16fLb0ELb0ELb0ELj16ELj16ELj4EEEvPT_PKS2_S5_T0_PKS6_S6_S8_jjjjjjbb@rel32@lo+4
	s_addc_u32 s5, s5, __PRETTY_FUNCTION__._ZN10amd_detail9transformI12hip_bfloat16fLb0ELb0ELb0ELj16ELj16ELj4EEEvPT_PKS2_S5_T0_PKS6_S6_S8_jjjjjjbb@rel32@hi+12
	s_getpc_b64 s[6:7]
	s_add_u32 s6, s6, __assert_fail@rel32@lo+4
	s_addc_u32 s7, s7, __assert_fail@rel32@hi+12
	v_mov_b32_e32 v0, s4
	v_mov_b32_e32 v1, s5
	s_swappc_b64 s[30:31], s[6:7]
	s_mov_b64 s[4:5], 0
	; divergent unreachable
.LBB65_2:
	s_andn2_b64 vcc, exec, s[4:5]
	s_cbranch_vccnz .LBB65_70
; %bb.3:
	s_load_dwordx8 s[12:19], s[28:29], 0x38
	s_waitcnt lgkmcnt(0)
	s_lshr_b32 s6, s12, 6
	s_and_b32 s4, s12, 63
	s_cmp_lg_u32 s4, 0
	s_cselect_b64 s[4:5], -1, 0
	s_cmp_lg_u64 s[4:5], 0
	s_addc_u32 s6, s6, 0
	v_cvt_f32_u32_e32 v0, s6
	s_load_dword s8, s[28:29], 0x18
	s_load_dwordx2 s[4:5], s[28:29], 0x20
	s_sub_i32 s7, 0, s6
	v_rcp_iflag_f32_e32 v0, v0
	s_waitcnt lgkmcnt(0)
	v_mov_b32_e32 v9, s8
	v_mul_f32_e32 v0, 0x4f7ffffe, v0
	v_cvt_u32_f32_e32 v0, v0
	v_readfirstlane_b32 s9, v0
	s_mul_i32 s7, s7, s9
	s_mul_hi_u32 s7, s9, s7
	s_add_i32 s9, s9, s7
	s_mul_hi_u32 s7, s34, s9
	s_cmp_eq_u64 s[4:5], 0
	s_cbranch_scc1 .LBB65_5
; %bb.4:
	v_mov_b32_e32 v0, 0
	global_load_dword v9, v0, s[4:5]
.LBB65_5:
	s_load_dwordx2 s[4:5], s[28:29], 0x30
	s_load_dword s8, s[28:29], 0x28
	s_waitcnt lgkmcnt(0)
	s_cmp_eq_u64 s[4:5], 0
	v_mov_b32_e32 v11, s8
	s_cbranch_scc1 .LBB65_7
; %bb.6:
	v_mov_b32_e32 v0, 0
	global_load_dword v11, v0, s[4:5]
.LBB65_7:
	s_mul_i32 s4, s7, s6
	s_sub_i32 s4, s34, s4
	s_add_i32 s5, s7, 1
	s_sub_i32 s8, s4, s6
	s_cmp_ge_u32 s4, s6
	s_cselect_b32 s5, s5, s7
	s_cselect_b32 s4, s8, s4
	s_add_i32 s7, s5, 1
	s_cmp_ge_u32 s4, s6
	s_cselect_b32 s4, s7, s5
	v_lshrrev_b32_e32 v0, 4, v42
	v_lshl_add_u32 v0, s4, 4, v0
	v_cmp_gt_u32_e32 vcc, s13, v0
	s_and_saveexec_b64 s[8:9], vcc
	s_cbranch_execz .LBB65_70
; %bb.8:
	s_mul_i32 s13, s4, s6
	v_lshlrev_b32_e32 v1, 2, v42
	s_sub_i32 s4, s34, s13
	v_and_b32_e32 v6, 60, v1
	v_lshl_or_b32 v8, s4, 6, v6
	v_add_u32_e32 v10, 4, v8
	s_load_dwordx4 s[20:23], s[28:29], 0x0
	s_load_dwordx2 s[24:25], s[28:29], 0x10
	v_sub_u32_e64 v7, v10, s12 clamp
	v_sub_u32_e32 v1, v8, v7
	v_mad_u64_u32 v[2:3], s[4:5], v0, s14, v[1:2]
	s_bitcmp1_b32 s18, 0
	s_cselect_b64 vcc, -1, 0
	s_waitcnt lgkmcnt(0)
	s_cmp_lg_u64 s[22:23], 0
	s_mul_i32 s17, s17, s35
	s_cselect_b64 s[10:11], -1, 0
	s_cmp_eq_u64 s[22:23], 0
	v_mov_b32_e32 v12, 0
	v_mov_b32_e32 v13, 0
	s_cbranch_scc1 .LBB65_10
; %bb.9:
	v_mad_u64_u32 v[3:4], s[4:5], v1, s14, v[0:1]
	v_mov_b32_e32 v4, 0
	v_mov_b32_e32 v5, s23
	v_cndmask_b32_e32 v3, v2, v3, vcc
	v_add_u32_e32 v3, s17, v3
	v_lshlrev_b64 v[3:4], 1, v[3:4]
	v_add_co_u32_e64 v3, s[4:5], s22, v3
	v_addc_co_u32_e64 v4, s[4:5], v5, v4, s[4:5]
	global_load_ushort v3, v[3:4], off
	s_waitcnt vmcnt(0)
	v_lshlrev_b32_e32 v13, 16, v3
.LBB65_10:
	s_load_dword s6, s[28:29], 0x50
	s_xor_b64 s[8:9], vcc, -1
	v_mad_u64_u32 v[3:4], s[4:5], v0, s15, v[1:2]
	v_mul_lo_u32 v14, v1, s15
	s_waitcnt lgkmcnt(0)
	s_bitcmp1_b32 s6, 8
	s_cselect_b64 s[6:7], -1, 0
	s_cmp_lg_u64 s[24:25], 0
	s_cselect_b64 s[18:19], -1, 0
	s_cmp_eq_u64 s[24:25], 0
	s_cbranch_scc1 .LBB65_12
; %bb.11:
	v_add_u32_e32 v4, v14, v0
	v_cndmask_b32_e64 v4, v3, v4, s[6:7]
	v_add_u32_e32 v4, s17, v4
	v_mov_b32_e32 v5, 0
	v_lshlrev_b64 v[4:5], 1, v[4:5]
	v_mov_b32_e32 v12, s25
	v_add_co_u32_e32 v4, vcc, s24, v4
	v_addc_co_u32_e32 v5, vcc, v12, v5, vcc
	global_load_ushort v4, v[4:5], off
	s_waitcnt vmcnt(0)
	v_lshlrev_b32_e32 v12, 16, v4
.LBB65_12:
	v_cndmask_b32_e64 v4, 0, 1, s[8:9]
	v_cmp_ne_u32_e64 s[4:5], 1, v4
	s_andn2_b64 vcc, exec, s[8:9]
	s_cbranch_vccnz .LBB65_14
; %bb.13:
	v_add_u32_e32 v4, 1, v2
	s_xor_b64 s[8:9], s[6:7], -1
	s_cbranch_execz .LBB65_15
	s_branch .LBB65_16
.LBB65_14:
                                        ; implicit-def: $vgpr4
	s_xor_b64 s[8:9], s[6:7], -1
.LBB65_15:
	v_mul_lo_u32 v4, s14, v1
	v_add3_u32 v4, v4, s14, v0
.LBB65_16:
	v_cndmask_b32_e64 v5, 0, 1, s[8:9]
	v_cmp_ne_u32_e64 s[6:7], 1, v5
	s_andn2_b64 vcc, exec, s[8:9]
	s_cbranch_vccnz .LBB65_18
; %bb.17:
	v_add_u32_e32 v5, 1, v3
	s_cbranch_execz .LBB65_19
	s_branch .LBB65_20
.LBB65_18:
                                        ; implicit-def: $vgpr5
.LBB65_19:
	v_add3_u32 v5, v14, s15, v0
.LBB65_20:
	v_cndmask_b32_e64 v15, 0, 1, s[10:11]
	v_mov_b32_e32 v16, 0
	v_cmp_ne_u32_e64 s[8:9], 1, v15
	s_andn2_b64 vcc, exec, s[10:11]
	v_mov_b32_e32 v15, 0
	s_cbranch_vccnz .LBB65_22
; %bb.21:
	v_add_u32_e32 v17, s17, v4
	v_mov_b32_e32 v18, 0
	v_lshlrev_b64 v[17:18], 1, v[17:18]
	v_mov_b32_e32 v4, s23
	v_add_co_u32_e32 v17, vcc, s22, v17
	v_addc_co_u32_e32 v18, vcc, v4, v18, vcc
	global_load_ushort v4, v[17:18], off
	s_waitcnt vmcnt(0)
	v_lshlrev_b32_e32 v15, 16, v4
.LBB65_22:
	v_cndmask_b32_e64 v4, 0, 1, s[18:19]
	v_cmp_ne_u32_e64 s[10:11], 1, v4
	s_andn2_b64 vcc, exec, s[18:19]
	s_cbranch_vccnz .LBB65_24
; %bb.23:
	v_add_u32_e32 v4, s17, v5
	v_mov_b32_e32 v5, 0
	v_lshlrev_b64 v[4:5], 1, v[4:5]
	v_mov_b32_e32 v16, s25
	v_add_co_u32_e32 v4, vcc, s24, v4
	v_addc_co_u32_e32 v5, vcc, v16, v5, vcc
	global_load_ushort v4, v[4:5], off
	s_waitcnt vmcnt(0)
	v_lshlrev_b32_e32 v16, 16, v4
.LBB65_24:
	s_and_b64 vcc, exec, s[4:5]
	s_cbranch_vccnz .LBB65_26
; %bb.25:
	v_add_u32_e32 v4, 2, v2
	s_cbranch_execz .LBB65_27
	s_branch .LBB65_28
.LBB65_26:
                                        ; implicit-def: $vgpr4
.LBB65_27:
	v_add_u32_e32 v4, 2, v1
	v_mad_u64_u32 v[4:5], s[18:19], v4, s14, v[0:1]
.LBB65_28:
	s_and_b64 vcc, exec, s[6:7]
	s_cbranch_vccnz .LBB65_30
; %bb.29:
	v_add_u32_e32 v5, 2, v3
	s_cbranch_execz .LBB65_31
	s_branch .LBB65_32
.LBB65_30:
                                        ; implicit-def: $vgpr5
.LBB65_31:
	s_lshl_b32 s18, s15, 1
	v_add3_u32 v5, v14, s18, v0
.LBB65_32:
	v_mov_b32_e32 v18, 0
	s_and_b64 vcc, exec, s[8:9]
	v_mov_b32_e32 v17, 0
	s_cbranch_vccnz .LBB65_34
; %bb.33:
	v_add_u32_e32 v19, s17, v4
	v_mov_b32_e32 v20, 0
	v_lshlrev_b64 v[19:20], 1, v[19:20]
	v_mov_b32_e32 v4, s23
	v_add_co_u32_e32 v19, vcc, s22, v19
	v_addc_co_u32_e32 v20, vcc, v4, v20, vcc
	global_load_ushort v4, v[19:20], off
	s_waitcnt vmcnt(0)
	v_lshlrev_b32_e32 v17, 16, v4
.LBB65_34:
	s_and_b64 vcc, exec, s[10:11]
	s_cbranch_vccnz .LBB65_36
; %bb.35:
	v_add_u32_e32 v4, s17, v5
	v_mov_b32_e32 v5, 0
	v_lshlrev_b64 v[4:5], 1, v[4:5]
	v_mov_b32_e32 v18, s25
	v_add_co_u32_e32 v4, vcc, s24, v4
	v_addc_co_u32_e32 v5, vcc, v18, v5, vcc
	global_load_ushort v4, v[4:5], off
	s_waitcnt vmcnt(0)
	v_lshlrev_b32_e32 v18, 16, v4
.LBB65_36:
	s_and_b64 vcc, exec, s[4:5]
	s_cbranch_vccnz .LBB65_38
; %bb.37:
	v_add_u32_e32 v4, 3, v2
	s_cbranch_execz .LBB65_39
	s_branch .LBB65_40
.LBB65_38:
                                        ; implicit-def: $vgpr4
.LBB65_39:
	v_add_u32_e32 v1, 3, v1
	v_mad_u64_u32 v[4:5], s[4:5], v1, s14, v[0:1]
.LBB65_40:
	s_and_b64 vcc, exec, s[6:7]
	s_cbranch_vccnz .LBB65_42
; %bb.41:
	v_add_u32_e32 v1, 3, v3
	s_cbranch_execz .LBB65_43
	s_branch .LBB65_44
.LBB65_42:
                                        ; implicit-def: $vgpr1
.LBB65_43:
	s_mul_i32 s4, s15, 3
	v_add3_u32 v1, v14, s4, v0
.LBB65_44:
	v_mov_b32_e32 v3, 0
	s_and_b64 vcc, exec, s[8:9]
	v_mov_b32_e32 v2, 0
	s_cbranch_vccnz .LBB65_46
; %bb.45:
	v_add_u32_e32 v4, s17, v4
	v_mov_b32_e32 v5, 0
	v_lshlrev_b64 v[4:5], 1, v[4:5]
	v_mov_b32_e32 v2, s23
	v_add_co_u32_e32 v4, vcc, s22, v4
	v_addc_co_u32_e32 v5, vcc, v2, v5, vcc
	global_load_ushort v2, v[4:5], off
	s_waitcnt vmcnt(0)
	v_lshlrev_b32_e32 v2, 16, v2
.LBB65_46:
	s_and_b64 vcc, exec, s[10:11]
	s_cbranch_vccnz .LBB65_48
; %bb.47:
	v_add_u32_e32 v3, s17, v1
	v_mov_b32_e32 v4, 0
	v_lshlrev_b64 v[3:4], 1, v[3:4]
	v_mov_b32_e32 v1, s25
	v_add_co_u32_e32 v3, vcc, s24, v3
	v_addc_co_u32_e32 v4, vcc, v1, v4, vcc
	global_load_ushort v1, v[3:4], off
	s_waitcnt vmcnt(0)
	v_lshlrev_b32_e32 v3, 16, v1
.LBB65_48:
	s_waitcnt vmcnt(0)
	v_mul_f32_e32 v1, v11, v12
	v_fmac_f32_e32 v1, v9, v13
	s_mov_b32 s4, 0x7f800000
	v_and_b32_e32 v4, 0x7f800000, v1
	v_cmp_ne_u32_e32 vcc, s4, v4
                                        ; implicit-def: $vgpr4
	s_and_saveexec_b64 s[4:5], vcc
	s_xor_b64 s[4:5], exec, s[4:5]
; %bb.49:
	v_bfe_u32 v4, v1, 16, 1
	s_movk_i32 s6, 0x7fff
	v_add3_u32 v4, v1, v4, s6
                                        ; implicit-def: $vgpr1
; %bb.50:
	s_andn2_saveexec_b64 s[4:5], s[4:5]
; %bb.51:
	v_mov_b32_e32 v4, 0
	v_or_b32_e32 v5, 0x10000, v1
	v_cmp_eq_u32_sdwa vcc, v1, v4 src0_sel:WORD_0 src1_sel:DWORD
	v_cndmask_b32_e32 v4, v5, v1, vcc
; %bb.52:
	s_or_b64 exec, exec, s[4:5]
	s_load_dwordx2 s[4:5], s[26:27], 0x4
	v_mul_f32_e32 v5, v11, v16
	v_fmac_f32_e32 v5, v9, v15
	v_and_b32_e32 v13, 0x7f800000, v5
	v_lshrrev_b32_e32 v4, 16, v4
	s_waitcnt lgkmcnt(0)
	s_lshr_b32 s4, s4, 16
	s_mul_i32 s4, s4, s5
	v_mul_lo_u32 v1, s4, v42
	s_mov_b32 s4, 0x7f800000
	v_cmp_ne_u32_e32 vcc, s4, v13
                                        ; implicit-def: $vgpr13
	v_mad_u32_u24 v12, v43, s5, v1
	v_add_lshl_u32 v12, v12, v41, 3
	ds_write_b16 v12, v4
	s_and_saveexec_b64 s[6:7], vcc
	s_xor_b64 s[6:7], exec, s[6:7]
; %bb.53:
	v_bfe_u32 v13, v5, 16, 1
	s_movk_i32 s4, 0x7fff
	v_add3_u32 v13, v5, v13, s4
                                        ; implicit-def: $vgpr5
; %bb.54:
	s_andn2_saveexec_b64 s[6:7], s[6:7]
; %bb.55:
	v_mov_b32_e32 v13, 0
	v_or_b32_e32 v14, 0x10000, v5
	v_cmp_eq_u32_sdwa vcc, v5, v13 src0_sel:WORD_0 src1_sel:DWORD
	v_cndmask_b32_e32 v13, v14, v5, vcc
; %bb.56:
	s_or_b64 exec, exec, s[6:7]
	v_lshrrev_b32_e32 v5, 16, v13
	v_mul_f32_e32 v13, v11, v18
	v_fmac_f32_e32 v13, v9, v17
	s_mov_b32 s4, 0x7f800000
	v_and_b32_e32 v14, 0x7f800000, v13
	v_cmp_ne_u32_e32 vcc, s4, v14
	ds_write_b16 v12, v5 offset:2
                                        ; implicit-def: $vgpr14
	s_and_saveexec_b64 s[6:7], vcc
	s_xor_b64 s[6:7], exec, s[6:7]
; %bb.57:
	v_bfe_u32 v14, v13, 16, 1
	s_movk_i32 s4, 0x7fff
	v_add3_u32 v14, v13, v14, s4
                                        ; implicit-def: $vgpr13
; %bb.58:
	s_andn2_saveexec_b64 s[6:7], s[6:7]
; %bb.59:
	v_mov_b32_e32 v14, 0
	v_or_b32_e32 v15, 0x10000, v13
	v_cmp_eq_u32_sdwa vcc, v13, v14 src0_sel:WORD_0 src1_sel:DWORD
	v_cndmask_b32_e32 v14, v15, v13, vcc
; %bb.60:
	s_or_b64 exec, exec, s[6:7]
	v_mul_f32_e32 v3, v11, v3
	v_fmac_f32_e32 v3, v9, v2
	s_mov_b32 s4, 0x7f800000
	v_and_b32_e32 v2, 0x7f800000, v3
	v_lshrrev_b32_e32 v13, 16, v14
	v_cmp_ne_u32_e32 vcc, s4, v2
	ds_write_b16 v12, v13 offset:4
                                        ; implicit-def: $vgpr9
	s_and_saveexec_b64 s[6:7], vcc
	s_xor_b64 s[6:7], exec, s[6:7]
; %bb.61:
	v_bfe_u32 v2, v3, 16, 1
	s_movk_i32 s4, 0x7fff
	v_add3_u32 v9, v3, v2, s4
                                        ; implicit-def: $vgpr3
; %bb.62:
	s_andn2_saveexec_b64 s[6:7], s[6:7]
; %bb.63:
	v_mov_b32_e32 v2, 0
	v_or_b32_e32 v9, 0x10000, v3
	v_cmp_eq_u32_sdwa vcc, v3, v2 src0_sel:WORD_0 src1_sel:DWORD
	v_cndmask_b32_e32 v9, v9, v3, vcc
; %bb.64:
	s_or_b64 exec, exec, s[6:7]
	v_mul_lo_u32 v2, v0, s16
	v_lshrrev_b32_e32 v0, 16, v9
	v_cmp_ge_u32_e32 vcc, s12, v10
	ds_write_b16 v12, v0 offset:6
	s_and_saveexec_b64 s[6:7], vcc
	s_xor_b64 s[6:7], exec, s[6:7]
	s_cbranch_execz .LBB65_66
; %bb.65:
	v_add_u32_e32 v1, s17, v8
	v_sub_u32_e32 v1, v1, v7
	v_add_u32_e32 v1, v1, v2
	v_mov_b32_e32 v2, 0
	v_lshlrev_b64 v[6:7], 1, v[1:2]
	v_mov_b32_e32 v3, s21
	v_add_co_u32_e32 v6, vcc, s20, v6
	v_addc_co_u32_e32 v7, vcc, v3, v7, vcc
	global_store_short v[6:7], v4, off
	v_add_u32_e32 v3, 1, v1
	v_mov_b32_e32 v4, v2
	v_lshlrev_b64 v[3:4], 1, v[3:4]
	v_mov_b32_e32 v6, s21
	v_add_co_u32_e32 v3, vcc, s20, v3
	v_addc_co_u32_e32 v4, vcc, v6, v4, vcc
	global_store_short v[3:4], v5, off
	v_add_u32_e32 v3, 2, v1
	v_mov_b32_e32 v4, v2
	v_lshlrev_b64 v[3:4], 1, v[3:4]
	v_add_u32_e32 v1, 3, v1
	v_mov_b32_e32 v5, s21
	v_add_co_u32_e32 v3, vcc, s20, v3
	v_lshlrev_b64 v[1:2], 1, v[1:2]
	v_addc_co_u32_e32 v4, vcc, v5, v4, vcc
	global_store_short v[3:4], v13, off
	v_mov_b32_e32 v3, s21
	v_add_co_u32_e32 v1, vcc, s20, v1
	v_addc_co_u32_e32 v2, vcc, v3, v2, vcc
	global_store_short v[1:2], v0, off
                                        ; implicit-def: $vgpr7
                                        ; implicit-def: $vgpr43
                                        ; implicit-def: $vgpr6
                                        ; implicit-def: $vgpr2
                                        ; implicit-def: $vgpr41
                                        ; implicit-def: $vgpr1
                                        ; implicit-def: $vgpr42
.LBB65_66:
	s_andn2_saveexec_b64 s[6:7], s[6:7]
	s_cbranch_execz .LBB65_70
; %bb.67:
	v_cmp_gt_u32_e32 vcc, 4, v7
	s_and_b64 exec, exec, vcc
	s_cbranch_execz .LBB65_70
; %bb.68:
	v_mul_u32_u24_e32 v4, s5, v43
	v_lshl_or_b32 v0, s34, 6, v6
	s_lshl_b32 s4, s13, 6
	v_subrev_u32_e32 v3, s4, v0
	v_add3_u32 v0, s17, v2, v0
	v_add3_u32 v1, v4, v41, v1
	v_and_b32_e32 v2, 15, v42
	v_add_u32_e32 v5, 4, v3
	v_add_lshl_u32 v1, v1, v2, 3
	v_min_u32_e32 v5, s12, v5
	v_subrev_u32_e32 v0, s4, v0
	v_lshl_add_u32 v1, s34, 7, v1
	s_lshl_b32 s4, s13, 7
	v_subrev_u32_e32 v1, s4, v1
	v_lshlrev_b32_e32 v2, 1, v5
	v_sub_u32_e32 v3, v3, v5
	v_sub_u32_e32 v1, v1, v2
	v_add_u32_e32 v3, 3, v3
	v_add_u32_e32 v2, 8, v1
	s_mov_b64 s[6:7], 0
	v_mov_b32_e32 v1, 0
	v_mov_b32_e32 v4, s21
.LBB65_69:                              ; =>This Inner Loop Header: Depth=1
	ds_read_u16 v7, v2
	v_lshlrev_b64 v[5:6], 1, v[0:1]
	v_add_u32_e32 v3, 1, v3
	v_cmp_lt_u32_e32 vcc, 2, v3
	v_add_co_u32_e64 v5, s[4:5], s20, v5
	v_add_u32_e32 v0, 1, v0
	v_add_u32_e32 v2, 2, v2
	v_addc_co_u32_e64 v6, s[4:5], v4, v6, s[4:5]
	s_or_b64 s[6:7], vcc, s[6:7]
	s_waitcnt lgkmcnt(0)
	global_store_short v[5:6], v7, off
	s_andn2_b64 exec, exec, s[6:7]
	s_cbranch_execnz .LBB65_69
.LBB65_70:
	s_endpgm
	.section	.rodata,"a",@progbits
	.p2align	6, 0x0
	.amdhsa_kernel Transform_BF16_S_000_16_16_VW_4
		.amdhsa_group_segment_fixed_size 8192
		.amdhsa_private_segment_fixed_size 64
		.amdhsa_kernarg_size 344
		.amdhsa_user_sgpr_count 10
		.amdhsa_user_sgpr_private_segment_buffer 1
		.amdhsa_user_sgpr_dispatch_ptr 1
		.amdhsa_user_sgpr_queue_ptr 0
		.amdhsa_user_sgpr_kernarg_segment_ptr 1
		.amdhsa_user_sgpr_dispatch_id 0
		.amdhsa_user_sgpr_flat_scratch_init 1
		.amdhsa_user_sgpr_private_segment_size 0
		.amdhsa_uses_dynamic_stack 0
		.amdhsa_system_sgpr_private_segment_wavefront_offset 1
		.amdhsa_system_sgpr_workgroup_id_x 1
		.amdhsa_system_sgpr_workgroup_id_y 0
		.amdhsa_system_sgpr_workgroup_id_z 1
		.amdhsa_system_sgpr_workgroup_info 0
		.amdhsa_system_vgpr_workitem_id 2
		.amdhsa_next_free_vgpr 44
		.amdhsa_next_free_sgpr 36
		.amdhsa_reserve_vcc 1
		.amdhsa_reserve_flat_scratch 1
		.amdhsa_float_round_mode_32 0
		.amdhsa_float_round_mode_16_64 0
		.amdhsa_float_denorm_mode_32 3
		.amdhsa_float_denorm_mode_16_64 3
		.amdhsa_dx10_clamp 1
		.amdhsa_ieee_mode 1
		.amdhsa_fp16_overflow 0
		.amdhsa_exception_fp_ieee_invalid_op 0
		.amdhsa_exception_fp_denorm_src 0
		.amdhsa_exception_fp_ieee_div_zero 0
		.amdhsa_exception_fp_ieee_overflow 0
		.amdhsa_exception_fp_ieee_underflow 0
		.amdhsa_exception_fp_ieee_inexact 0
		.amdhsa_exception_int_div_zero 0
	.end_amdhsa_kernel
	.text
.Lfunc_end65:
	.size	Transform_BF16_S_000_16_16_VW_4, .Lfunc_end65-Transform_BF16_S_000_16_16_VW_4
                                        ; -- End function
	.set Transform_BF16_S_000_16_16_VW_4.num_vgpr, max(44, .L__assert_fail.num_vgpr)
	.set Transform_BF16_S_000_16_16_VW_4.num_agpr, max(0, .L__assert_fail.num_agpr)
	.set Transform_BF16_S_000_16_16_VW_4.numbered_sgpr, max(36, .L__assert_fail.numbered_sgpr)
	.set Transform_BF16_S_000_16_16_VW_4.num_named_barrier, max(0, .L__assert_fail.num_named_barrier)
	.set Transform_BF16_S_000_16_16_VW_4.private_seg_size, 0+max(.L__assert_fail.private_seg_size)
	.set Transform_BF16_S_000_16_16_VW_4.uses_vcc, or(1, .L__assert_fail.uses_vcc)
	.set Transform_BF16_S_000_16_16_VW_4.uses_flat_scratch, or(1, .L__assert_fail.uses_flat_scratch)
	.set Transform_BF16_S_000_16_16_VW_4.has_dyn_sized_stack, or(0, .L__assert_fail.has_dyn_sized_stack)
	.set Transform_BF16_S_000_16_16_VW_4.has_recursion, or(0, .L__assert_fail.has_recursion)
	.set Transform_BF16_S_000_16_16_VW_4.has_indirect_call, or(0, .L__assert_fail.has_indirect_call)
	.section	.AMDGPU.csdata,"",@progbits
; Kernel info:
; codeLenInByte = 2092
; TotalNumSgprs: 42
; NumVgprs: 44
; ScratchSize: 64
; MemoryBound: 0
; FloatMode: 240
; IeeeMode: 1
; LDSByteSize: 8192 bytes/workgroup (compile time only)
; SGPRBlocks: 5
; VGPRBlocks: 10
; NumSGPRsForWavesPerEU: 42
; NumVGPRsForWavesPerEU: 44
; Occupancy: 5
; WaveLimiterHint : 1
; COMPUTE_PGM_RSRC2:SCRATCH_EN: 1
; COMPUTE_PGM_RSRC2:USER_SGPR: 10
; COMPUTE_PGM_RSRC2:TRAP_HANDLER: 0
; COMPUTE_PGM_RSRC2:TGID_X_EN: 1
; COMPUTE_PGM_RSRC2:TGID_Y_EN: 0
; COMPUTE_PGM_RSRC2:TGID_Z_EN: 1
; COMPUTE_PGM_RSRC2:TIDIG_COMP_CNT: 2
	.text
	.protected	Transform_I8_S_111_16_16_VW_1 ; -- Begin function Transform_I8_S_111_16_16_VW_1
	.globl	Transform_I8_S_111_16_16_VW_1
	.p2align	8
	.type	Transform_I8_S_111_16_16_VW_1,@function
Transform_I8_S_111_16_16_VW_1:          ; @Transform_I8_S_111_16_16_VW_1
; %bb.0:
	s_mov_b64 s[26:27], s[4:5]
	s_load_dword s4, s[4:5], 0x64
	s_add_u32 flat_scratch_lo, s6, s10
	s_addc_u32 flat_scratch_hi, s7, 0
	s_add_u32 s0, s0, s10
	s_addc_u32 s1, s1, 0
	s_waitcnt lgkmcnt(0)
	s_and_b32 s4, s4, 0xffff
	s_mov_b32 s28, s9
	s_mov_b32 s29, s8
	v_mov_b32_e32 v41, v0
	s_cmpk_eq_i32 s4, 0x100
	s_mov_b64 s[4:5], -1
	s_mov_b32 s32, 0
	s_cbranch_scc1 .LBB66_2
; %bb.1:
	s_add_u32 s8, s26, 0x58
	s_addc_u32 s9, s27, 0
	s_getpc_b64 s[4:5]
	s_add_u32 s4, s4, __PRETTY_FUNCTION__._ZN10amd_detail9transformIafLb1ELb1ELb1ELj16ELj16ELj1EEEvPT_PKS1_S4_T0_PKS5_S5_S7_jjjjjjbb@rel32@lo+4
	s_addc_u32 s5, s5, __PRETTY_FUNCTION__._ZN10amd_detail9transformIafLb1ELb1ELb1ELj16ELj16ELj1EEEvPT_PKS1_S4_T0_PKS5_S5_S7_jjjjjjbb@rel32@hi+12
	s_getpc_b64 s[6:7]
	s_add_u32 s6, s6, __assert_fail@rel32@lo+4
	s_addc_u32 s7, s7, __assert_fail@rel32@hi+12
	v_mov_b32_e32 v0, s4
	v_mov_b32_e32 v1, s5
	s_swappc_b64 s[30:31], s[6:7]
	s_mov_b64 s[4:5], 0
	; divergent unreachable
.LBB66_2:
	s_andn2_b64 vcc, exec, s[4:5]
	s_cbranch_vccnz .LBB66_13
; %bb.3:
	s_load_dwordx8 s[4:11], s[26:27], 0x38
	s_waitcnt lgkmcnt(0)
	s_lshr_b32 s11, s4, 4
	s_and_b32 s12, s4, 15
	s_cmp_lg_u32 s12, 0
	s_cselect_b64 s[12:13], -1, 0
	s_cmp_lg_u64 s[12:13], 0
	s_addc_u32 s11, s11, 0
	v_cvt_f32_u32_e32 v0, s11
	s_load_dword s15, s[26:27], 0x18
	s_load_dwordx2 s[12:13], s[26:27], 0x20
	s_sub_i32 s14, 0, s11
	v_rcp_iflag_f32_e32 v0, v0
	v_mul_f32_e32 v0, 0x4f7ffffe, v0
	v_cvt_u32_f32_e32 v0, v0
	v_readfirstlane_b32 s16, v0
	s_mul_i32 s14, s14, s16
	s_mul_hi_u32 s14, s16, s14
	s_add_i32 s16, s16, s14
	s_mul_hi_u32 s14, s29, s16
	s_waitcnt lgkmcnt(0)
	s_cmp_eq_u64 s[12:13], 0
	v_mov_b32_e32 v0, s15
	s_cbranch_scc1 .LBB66_5
; %bb.4:
	v_mov_b32_e32 v0, 0
	global_load_dword v0, v0, s[12:13]
.LBB66_5:
	s_load_dwordx2 s[12:13], s[26:27], 0x30
	s_load_dword s15, s[26:27], 0x28
	s_waitcnt lgkmcnt(0)
	s_cmp_eq_u64 s[12:13], 0
	v_mov_b32_e32 v1, s15
	s_cbranch_scc1 .LBB66_7
; %bb.6:
	v_mov_b32_e32 v1, 0
	global_load_dword v1, v1, s[12:13]
.LBB66_7:
	s_mul_i32 s12, s14, s11
	s_sub_i32 s12, s29, s12
	s_add_i32 s13, s14, 1
	s_sub_i32 s15, s12, s11
	s_cmp_ge_u32 s12, s11
	s_cselect_b32 s13, s13, s14
	s_cselect_b32 s12, s15, s12
	s_add_i32 s14, s13, 1
	s_cmp_ge_u32 s12, s11
	s_cselect_b32 s12, s14, s13
	s_mul_i32 s11, s12, s11
	s_sub_i32 s11, s29, s11
	v_and_b32_e32 v2, 15, v41
	v_lshrrev_b32_e32 v4, 4, v41
	v_lshl_or_b32 v3, s11, 4, v2
	v_lshl_add_u32 v2, s12, 4, v4
	v_cmp_gt_u32_e32 vcc, s4, v3
	v_cmp_gt_u32_e64 s[4:5], s5, v2
	s_and_b64 s[4:5], vcc, s[4:5]
	s_and_saveexec_b64 s[12:13], s[4:5]
	s_cbranch_execz .LBB66_13
; %bb.8:
	s_load_dwordx4 s[12:15], s[26:27], 0x0
	s_load_dwordx2 s[4:5], s[26:27], 0x10
	s_mul_i32 s9, s9, s28
	v_mov_b32_e32 v5, 0
	v_mov_b32_e32 v4, 0
	s_waitcnt lgkmcnt(0)
	s_cmp_eq_u64 s[14:15], 0
	s_cbranch_scc1 .LBB66_10
; %bb.9:
	s_bitcmp1_b32 s10, 0
	s_cselect_b64 vcc, -1, 0
	v_cndmask_b32_e32 v4, v3, v2, vcc
	v_mul_lo_u32 v4, v4, s6
	v_cndmask_b32_e32 v6, v2, v3, vcc
	v_add3_u32 v4, v6, s9, v4
	global_load_sbyte v4, v4, s[14:15]
	s_waitcnt vmcnt(0)
	v_cvt_f32_i32_e32 v4, v4
.LBB66_10:
	s_cmp_eq_u64 s[4:5], 0
	s_cbranch_scc1 .LBB66_12
; %bb.11:
	s_load_dword s6, s[26:27], 0x50
	s_waitcnt lgkmcnt(0)
	s_bitcmp1_b32 s6, 8
	s_cselect_b64 vcc, -1, 0
	v_cndmask_b32_e32 v5, v3, v2, vcc
	v_mul_lo_u32 v5, v5, s7
	v_cndmask_b32_e32 v6, v2, v3, vcc
	v_add3_u32 v5, v6, s9, v5
	global_load_sbyte v5, v5, s[4:5]
	s_waitcnt vmcnt(0)
	v_cvt_f32_i32_e32 v5, v5
.LBB66_12:
	s_waitcnt vmcnt(0)
	v_mul_f32_e32 v1, v1, v5
	v_fmac_f32_e32 v1, v0, v4
	v_mul_lo_u32 v0, v3, s8
	v_cvt_i32_f32_e32 v1, v1
	v_add3_u32 v0, v2, s9, v0
	global_store_byte v0, v1, s[12:13]
.LBB66_13:
	s_endpgm
	.section	.rodata,"a",@progbits
	.p2align	6, 0x0
	.amdhsa_kernel Transform_I8_S_111_16_16_VW_1
		.amdhsa_group_segment_fixed_size 0
		.amdhsa_private_segment_fixed_size 64
		.amdhsa_kernarg_size 344
		.amdhsa_user_sgpr_count 8
		.amdhsa_user_sgpr_private_segment_buffer 1
		.amdhsa_user_sgpr_dispatch_ptr 0
		.amdhsa_user_sgpr_queue_ptr 0
		.amdhsa_user_sgpr_kernarg_segment_ptr 1
		.amdhsa_user_sgpr_dispatch_id 0
		.amdhsa_user_sgpr_flat_scratch_init 1
		.amdhsa_user_sgpr_private_segment_size 0
		.amdhsa_uses_dynamic_stack 0
		.amdhsa_system_sgpr_private_segment_wavefront_offset 1
		.amdhsa_system_sgpr_workgroup_id_x 1
		.amdhsa_system_sgpr_workgroup_id_y 0
		.amdhsa_system_sgpr_workgroup_id_z 1
		.amdhsa_system_sgpr_workgroup_info 0
		.amdhsa_system_vgpr_workitem_id 0
		.amdhsa_next_free_vgpr 42
		.amdhsa_next_free_sgpr 34
		.amdhsa_reserve_vcc 1
		.amdhsa_reserve_flat_scratch 1
		.amdhsa_float_round_mode_32 0
		.amdhsa_float_round_mode_16_64 0
		.amdhsa_float_denorm_mode_32 3
		.amdhsa_float_denorm_mode_16_64 3
		.amdhsa_dx10_clamp 1
		.amdhsa_ieee_mode 1
		.amdhsa_fp16_overflow 0
		.amdhsa_exception_fp_ieee_invalid_op 0
		.amdhsa_exception_fp_denorm_src 0
		.amdhsa_exception_fp_ieee_div_zero 0
		.amdhsa_exception_fp_ieee_overflow 0
		.amdhsa_exception_fp_ieee_underflow 0
		.amdhsa_exception_fp_ieee_inexact 0
		.amdhsa_exception_int_div_zero 0
	.end_amdhsa_kernel
	.text
.Lfunc_end66:
	.size	Transform_I8_S_111_16_16_VW_1, .Lfunc_end66-Transform_I8_S_111_16_16_VW_1
                                        ; -- End function
	.set Transform_I8_S_111_16_16_VW_1.num_vgpr, max(42, .L__assert_fail.num_vgpr)
	.set Transform_I8_S_111_16_16_VW_1.num_agpr, max(0, .L__assert_fail.num_agpr)
	.set Transform_I8_S_111_16_16_VW_1.numbered_sgpr, max(33, .L__assert_fail.numbered_sgpr)
	.set Transform_I8_S_111_16_16_VW_1.num_named_barrier, max(0, .L__assert_fail.num_named_barrier)
	.set Transform_I8_S_111_16_16_VW_1.private_seg_size, 0+max(.L__assert_fail.private_seg_size)
	.set Transform_I8_S_111_16_16_VW_1.uses_vcc, or(1, .L__assert_fail.uses_vcc)
	.set Transform_I8_S_111_16_16_VW_1.uses_flat_scratch, or(1, .L__assert_fail.uses_flat_scratch)
	.set Transform_I8_S_111_16_16_VW_1.has_dyn_sized_stack, or(0, .L__assert_fail.has_dyn_sized_stack)
	.set Transform_I8_S_111_16_16_VW_1.has_recursion, or(0, .L__assert_fail.has_recursion)
	.set Transform_I8_S_111_16_16_VW_1.has_indirect_call, or(0, .L__assert_fail.has_indirect_call)
	.section	.AMDGPU.csdata,"",@progbits
; Kernel info:
; codeLenInByte = 608
; TotalNumSgprs: 40
; NumVgprs: 42
; ScratchSize: 64
; MemoryBound: 0
; FloatMode: 240
; IeeeMode: 1
; LDSByteSize: 0 bytes/workgroup (compile time only)
; SGPRBlocks: 4
; VGPRBlocks: 10
; NumSGPRsForWavesPerEU: 40
; NumVGPRsForWavesPerEU: 42
; Occupancy: 5
; WaveLimiterHint : 1
; COMPUTE_PGM_RSRC2:SCRATCH_EN: 1
; COMPUTE_PGM_RSRC2:USER_SGPR: 8
; COMPUTE_PGM_RSRC2:TRAP_HANDLER: 0
; COMPUTE_PGM_RSRC2:TGID_X_EN: 1
; COMPUTE_PGM_RSRC2:TGID_Y_EN: 0
; COMPUTE_PGM_RSRC2:TGID_Z_EN: 1
; COMPUTE_PGM_RSRC2:TIDIG_COMP_CNT: 0
	.text
	.protected	Transform_I8_S_111_16_16_VW_4 ; -- Begin function Transform_I8_S_111_16_16_VW_4
	.globl	Transform_I8_S_111_16_16_VW_4
	.p2align	8
	.type	Transform_I8_S_111_16_16_VW_4,@function
Transform_I8_S_111_16_16_VW_4:          ; @Transform_I8_S_111_16_16_VW_4
; %bb.0:
	s_mov_b64 s[26:27], s[4:5]
	s_load_dword s4, s[6:7], 0x64
	s_add_u32 flat_scratch_lo, s8, s12
	s_addc_u32 flat_scratch_hi, s9, 0
	s_add_u32 s0, s0, s12
	s_addc_u32 s1, s1, 0
	s_waitcnt lgkmcnt(0)
	s_and_b32 s4, s4, 0xffff
	s_mov_b32 s35, s11
	s_mov_b32 s34, s10
	s_mov_b64 s[28:29], s[6:7]
	v_mov_b32_e32 v41, v2
	v_mov_b32_e32 v42, v1
	;; [unrolled: 1-line block ×3, first 2 shown]
	s_cmpk_eq_i32 s4, 0x100
	s_mov_b64 s[4:5], -1
	s_mov_b32 s32, 0
	s_cbranch_scc1 .LBB67_2
; %bb.1:
	s_add_u32 s8, s28, 0x58
	s_addc_u32 s9, s29, 0
	s_getpc_b64 s[4:5]
	s_add_u32 s4, s4, __PRETTY_FUNCTION__._ZN10amd_detail9transformIafLb1ELb1ELb1ELj16ELj16ELj4EEEvPT_PKS1_S4_T0_PKS5_S5_S7_jjjjjjbb@rel32@lo+4
	s_addc_u32 s5, s5, __PRETTY_FUNCTION__._ZN10amd_detail9transformIafLb1ELb1ELb1ELj16ELj16ELj4EEEvPT_PKS1_S4_T0_PKS5_S5_S7_jjjjjjbb@rel32@hi+12
	s_getpc_b64 s[6:7]
	s_add_u32 s6, s6, __assert_fail@rel32@lo+4
	s_addc_u32 s7, s7, __assert_fail@rel32@hi+12
	v_mov_b32_e32 v0, s4
	v_mov_b32_e32 v1, s5
	s_swappc_b64 s[30:31], s[6:7]
	s_mov_b64 s[4:5], 0
	; divergent unreachable
.LBB67_2:
	s_andn2_b64 vcc, exec, s[4:5]
	s_cbranch_vccnz .LBB67_54
; %bb.3:
	s_load_dwordx4 s[12:15], s[28:29], 0x38
	s_waitcnt lgkmcnt(0)
	s_lshr_b32 s6, s12, 4
	s_and_b32 s4, s12, 15
	s_cmp_lg_u32 s4, 0
	s_cselect_b64 s[4:5], -1, 0
	s_cmp_lg_u64 s[4:5], 0
	s_addc_u32 s6, s6, 0
	v_cvt_f32_u32_e32 v0, s6
	s_load_dword s8, s[28:29], 0x18
	s_load_dwordx2 s[4:5], s[28:29], 0x20
	s_sub_i32 s7, 0, s6
	v_rcp_iflag_f32_e32 v0, v0
	s_waitcnt lgkmcnt(0)
	v_mov_b32_e32 v10, s8
	v_mul_f32_e32 v0, 0x4f7ffffe, v0
	v_cvt_u32_f32_e32 v0, v0
	v_readfirstlane_b32 s9, v0
	s_mul_i32 s7, s7, s9
	s_mul_hi_u32 s7, s9, s7
	s_add_i32 s9, s9, s7
	s_mul_hi_u32 s7, s34, s9
	s_cmp_eq_u64 s[4:5], 0
	s_cbranch_scc1 .LBB67_5
; %bb.4:
	v_mov_b32_e32 v0, 0
	global_load_dword v10, v0, s[4:5]
.LBB67_5:
	s_load_dwordx2 s[4:5], s[28:29], 0x30
	s_load_dword s8, s[28:29], 0x28
	s_waitcnt lgkmcnt(0)
	s_cmp_eq_u64 s[4:5], 0
	v_mov_b32_e32 v13, s8
	s_cbranch_scc1 .LBB67_7
; %bb.6:
	v_mov_b32_e32 v0, 0
	global_load_dword v13, v0, s[4:5]
.LBB67_7:
	s_mul_i32 s4, s7, s6
	s_sub_i32 s4, s34, s4
	s_add_i32 s5, s7, 1
	s_sub_i32 s8, s4, s6
	s_cmp_ge_u32 s4, s6
	s_cselect_b32 s5, s5, s7
	s_cselect_b32 s4, s8, s4
	s_add_i32 s7, s5, 1
	s_cmp_ge_u32 s4, s6
	s_cselect_b32 s4, s7, s5
	s_mul_i32 s30, s4, s6
	s_sub_i32 s5, s34, s30
	v_and_b32_e32 v7, 15, v43
	v_lshl_or_b32 v0, s5, 4, v7
	v_cmp_gt_u32_e32 vcc, s12, v0
	s_and_saveexec_b64 s[6:7], vcc
	s_cbranch_execz .LBB67_54
; %bb.8:
	v_lshrrev_b32_e32 v1, 2, v43
	s_lshl_b32 s12, s4, 6
	v_and_b32_e32 v9, 0xfc, v1
	s_load_dwordx4 s[20:23], s[28:29], 0x48
	v_add_u32_e32 v8, s12, v9
	v_add_u32_e32 v11, 4, v8
	v_sub_u32_e64 v12, v11, s13 clamp
	s_load_dwordx4 s[16:19], s[28:29], 0x0
	s_load_dwordx2 s[24:25], s[28:29], 0x10
	v_sub_u32_e32 v1, v8, v12
	v_mad_u64_u32 v[4:5], s[4:5], v0, s14, v[1:2]
	s_waitcnt lgkmcnt(0)
	s_bitcmp1_b32 s22, 0
	s_cselect_b64 vcc, -1, 0
	s_cmp_lg_u64 s[18:19], 0
	s_mul_i32 s21, s21, s35
	s_cselect_b64 s[10:11], -1, 0
	s_cmp_eq_u64 s[18:19], 0
	v_mov_b32_e32 v15, 0
	v_mov_b32_e32 v14, 0
	s_cbranch_scc1 .LBB67_10
; %bb.9:
	v_mad_u64_u32 v[2:3], s[4:5], v1, s14, v[0:1]
	v_cndmask_b32_e32 v2, v4, v2, vcc
	v_add_u32_e32 v2, s21, v2
	global_load_sbyte v2, v2, s[18:19]
	s_waitcnt vmcnt(0)
	v_cvt_f32_i32_e32 v14, v2
.LBB67_10:
	s_load_dword s6, s[28:29], 0x50
	s_xor_b64 s[8:9], vcc, -1
	v_mad_u64_u32 v[2:3], s[4:5], v0, s15, v[1:2]
	v_mul_lo_u32 v16, v1, s15
	s_waitcnt lgkmcnt(0)
	s_bitcmp1_b32 s6, 8
	s_cselect_b64 s[6:7], -1, 0
	s_cmp_lg_u64 s[24:25], 0
	s_cselect_b64 s[22:23], -1, 0
	s_cmp_eq_u64 s[24:25], 0
	s_cbranch_scc1 .LBB67_12
; %bb.11:
	v_add_u32_e32 v3, v16, v0
	v_cndmask_b32_e64 v3, v2, v3, s[6:7]
	v_add_u32_e32 v3, s21, v3
	global_load_sbyte v3, v3, s[24:25]
	s_waitcnt vmcnt(0)
	v_cvt_f32_i32_e32 v15, v3
.LBB67_12:
	v_cndmask_b32_e64 v3, 0, 1, s[8:9]
	v_cmp_ne_u32_e64 s[4:5], 1, v3
	s_andn2_b64 vcc, exec, s[8:9]
	s_cbranch_vccnz .LBB67_14
; %bb.13:
	v_add_u32_e32 v3, 1, v4
	s_xor_b64 s[8:9], s[6:7], -1
	s_cbranch_execz .LBB67_15
	s_branch .LBB67_16
.LBB67_14:
                                        ; implicit-def: $vgpr3
	s_xor_b64 s[8:9], s[6:7], -1
.LBB67_15:
	v_mul_lo_u32 v3, s14, v1
	v_add3_u32 v3, v3, s14, v0
.LBB67_16:
	v_cndmask_b32_e64 v5, 0, 1, s[8:9]
	v_cmp_ne_u32_e64 s[6:7], 1, v5
	s_andn2_b64 vcc, exec, s[8:9]
	s_cbranch_vccnz .LBB67_18
; %bb.17:
	v_add_u32_e32 v5, 1, v2
	s_cbranch_execz .LBB67_19
	s_branch .LBB67_20
.LBB67_18:
                                        ; implicit-def: $vgpr5
.LBB67_19:
	v_add3_u32 v5, v16, s15, v0
.LBB67_20:
	v_cndmask_b32_e64 v6, 0, 1, s[10:11]
	v_mov_b32_e32 v18, 0
	v_cmp_ne_u32_e64 s[8:9], 1, v6
	s_andn2_b64 vcc, exec, s[10:11]
	v_mov_b32_e32 v17, 0
	s_cbranch_vccnz .LBB67_22
; %bb.21:
	v_add_u32_e32 v3, s21, v3
	global_load_sbyte v3, v3, s[18:19]
	s_waitcnt vmcnt(0)
	v_cvt_f32_i32_e32 v17, v3
.LBB67_22:
	v_cndmask_b32_e64 v3, 0, 1, s[22:23]
	v_cmp_ne_u32_e64 s[10:11], 1, v3
	s_andn2_b64 vcc, exec, s[22:23]
	s_cbranch_vccnz .LBB67_24
; %bb.23:
	v_add_u32_e32 v3, s21, v5
	global_load_sbyte v3, v3, s[24:25]
	s_waitcnt vmcnt(0)
	v_cvt_f32_i32_e32 v18, v3
.LBB67_24:
	s_and_b64 vcc, exec, s[4:5]
	s_cbranch_vccnz .LBB67_26
; %bb.25:
	v_add_u32_e32 v5, 2, v4
	s_cbranch_execz .LBB67_27
	s_branch .LBB67_28
.LBB67_26:
                                        ; implicit-def: $vgpr5
.LBB67_27:
	v_add_u32_e32 v3, 2, v1
	v_mad_u64_u32 v[5:6], s[22:23], v3, s14, v[0:1]
.LBB67_28:
	s_and_b64 vcc, exec, s[6:7]
	s_cbranch_vccnz .LBB67_30
; %bb.29:
	v_add_u32_e32 v3, 2, v2
	s_cbranch_execz .LBB67_31
	s_branch .LBB67_32
.LBB67_30:
                                        ; implicit-def: $vgpr3
.LBB67_31:
	s_lshl_b32 s22, s15, 1
	v_add3_u32 v3, v16, s22, v0
.LBB67_32:
	v_mov_b32_e32 v19, 0
	s_and_b64 vcc, exec, s[8:9]
	v_mov_b32_e32 v6, 0
	s_cbranch_vccnz .LBB67_34
; %bb.33:
	v_add_u32_e32 v5, s21, v5
	global_load_sbyte v5, v5, s[18:19]
	s_waitcnt vmcnt(0)
	v_cvt_f32_i32_e32 v6, v5
.LBB67_34:
	s_and_b64 vcc, exec, s[10:11]
	s_cbranch_vccnz .LBB67_36
; %bb.35:
	v_add_u32_e32 v3, s21, v3
	global_load_sbyte v3, v3, s[24:25]
	s_waitcnt vmcnt(0)
	v_cvt_f32_i32_e32 v19, v3
.LBB67_36:
	s_and_b64 vcc, exec, s[4:5]
	s_cbranch_vccnz .LBB67_38
; %bb.37:
	v_add_u32_e32 v3, 3, v4
	s_cbranch_execz .LBB67_39
	s_branch .LBB67_40
.LBB67_38:
                                        ; implicit-def: $vgpr3
.LBB67_39:
	v_add_u32_e32 v1, 3, v1
	v_mad_u64_u32 v[3:4], s[4:5], v1, s14, v[0:1]
.LBB67_40:
	s_and_b64 vcc, exec, s[6:7]
	s_cbranch_vccnz .LBB67_42
; %bb.41:
	v_add_u32_e32 v1, 3, v2
	s_cbranch_execz .LBB67_43
	s_branch .LBB67_44
.LBB67_42:
                                        ; implicit-def: $vgpr1
.LBB67_43:
	s_mul_i32 s4, s15, 3
	v_add3_u32 v1, v16, s4, v0
.LBB67_44:
	v_mov_b32_e32 v4, 0
	s_and_b64 vcc, exec, s[8:9]
	v_mov_b32_e32 v2, 0
	s_cbranch_vccnz .LBB67_46
; %bb.45:
	v_add_u32_e32 v2, s21, v3
	global_load_sbyte v2, v2, s[18:19]
	s_waitcnt vmcnt(0)
	v_cvt_f32_i32_e32 v2, v2
.LBB67_46:
	s_and_b64 vcc, exec, s[10:11]
	s_cbranch_vccnz .LBB67_48
; %bb.47:
	v_add_u32_e32 v1, s21, v1
	global_load_sbyte v1, v1, s[24:25]
	s_waitcnt vmcnt(0)
	v_cvt_f32_i32_e32 v4, v1
.LBB67_48:
	s_load_dwordx2 s[4:5], s[26:27], 0x4
	s_waitcnt vmcnt(0)
	v_mul_f32_e32 v3, v13, v18
	v_mul_f32_e32 v4, v13, v4
	;; [unrolled: 1-line block ×4, first 2 shown]
	s_waitcnt lgkmcnt(0)
	s_lshr_b32 s4, s4, 16
	v_fmac_f32_e32 v3, v10, v17
	v_fmac_f32_e32 v4, v10, v2
	;; [unrolled: 1-line block ×3, first 2 shown]
	s_mul_i32 s4, s4, s5
	v_cvt_i32_f32_e32 v3, v3
	v_fmac_f32_e32 v15, v10, v6
	v_cvt_i32_f32_e32 v2, v4
	v_mul_lo_u32 v14, s4, v43
	v_cvt_i32_f32_e32 v5, v1
	v_cvt_i32_f32_e32 v4, v15
	v_lshlrev_b16_e32 v6, 8, v3
	v_lshlrev_b16_e32 v10, 8, v2
	v_mad_u32_u24 v1, v42, s5, v14
	v_or_b32_sdwa v6, v5, v6 dst_sel:DWORD dst_unused:UNUSED_PAD src0_sel:BYTE_0 src1_sel:DWORD
	v_or_b32_sdwa v10, v4, v10 dst_sel:WORD_1 dst_unused:UNUSED_PAD src0_sel:BYTE_0 src1_sel:DWORD
	v_add_lshl_u32 v1, v1, v41, 2
	v_or_b32_sdwa v6, v6, v10 dst_sel:DWORD dst_unused:UNUSED_PAD src0_sel:WORD_0 src1_sel:DWORD
	v_cmp_ge_u32_e32 vcc, s13, v11
	ds_write_b32 v1, v6
	s_and_saveexec_b64 s[4:5], vcc
	s_xor_b64 s[4:5], exec, s[4:5]
	s_cbranch_execz .LBB67_50
; %bb.49:
	v_mul_lo_u32 v0, v0, s20
                                        ; implicit-def: $vgpr11
                                        ; implicit-def: $vgpr7
                                        ; implicit-def: $vgpr9
	v_add3_u32 v0, v8, s21, v0
	v_sub_u32_e32 v0, v0, v12
	global_store_byte v0, v5, s[16:17]
	v_add_u32_e32 v1, 1, v0
	v_add_u32_e32 v5, 2, v0
	;; [unrolled: 1-line block ×3, first 2 shown]
	global_store_byte v1, v3, s[16:17]
	global_store_byte v5, v4, s[16:17]
	;; [unrolled: 1-line block ×3, first 2 shown]
                                        ; implicit-def: $vgpr12
                                        ; implicit-def: $vgpr1
                                        ; implicit-def: $vgpr8
.LBB67_50:
	s_andn2_saveexec_b64 s[4:5], s[4:5]
	s_cbranch_execz .LBB67_54
; %bb.51:
	v_cmp_gt_u32_e32 vcc, 4, v12
	s_and_b64 exec, exec, vcc
	s_cbranch_execz .LBB67_54
; %bb.52:
	v_lshl_or_b32 v2, s34, 4, v7
	s_lshl_b32 s4, s30, 4
	v_subrev_u32_e32 v2, s4, v2
	v_mul_lo_u32 v2, s20, v2
	v_min_u32_e32 v0, s13, v11
	v_sub_u32_e32 v0, v8, v0
	s_add_i32 s12, s12, s21
	v_add_u32_e32 v0, 3, v0
	v_add3_u32 v2, s12, v2, v9
	s_mov_b64 s[4:5], 0
.LBB67_53:                              ; =>This Inner Loop Header: Depth=1
	v_add_u32_e32 v3, v1, v0
	ds_read_u8 v3, v3 offset:1
	v_add_u32_e32 v0, 1, v0
	v_cmp_lt_u32_e32 vcc, 2, v0
	s_or_b64 s[4:5], vcc, s[4:5]
	s_waitcnt lgkmcnt(0)
	global_store_byte v2, v3, s[16:17]
	v_add_u32_e32 v2, 1, v2
	s_andn2_b64 exec, exec, s[4:5]
	s_cbranch_execnz .LBB67_53
.LBB67_54:
	s_endpgm
	.section	.rodata,"a",@progbits
	.p2align	6, 0x0
	.amdhsa_kernel Transform_I8_S_111_16_16_VW_4
		.amdhsa_group_segment_fixed_size 4096
		.amdhsa_private_segment_fixed_size 64
		.amdhsa_kernarg_size 344
		.amdhsa_user_sgpr_count 10
		.amdhsa_user_sgpr_private_segment_buffer 1
		.amdhsa_user_sgpr_dispatch_ptr 1
		.amdhsa_user_sgpr_queue_ptr 0
		.amdhsa_user_sgpr_kernarg_segment_ptr 1
		.amdhsa_user_sgpr_dispatch_id 0
		.amdhsa_user_sgpr_flat_scratch_init 1
		.amdhsa_user_sgpr_private_segment_size 0
		.amdhsa_uses_dynamic_stack 0
		.amdhsa_system_sgpr_private_segment_wavefront_offset 1
		.amdhsa_system_sgpr_workgroup_id_x 1
		.amdhsa_system_sgpr_workgroup_id_y 0
		.amdhsa_system_sgpr_workgroup_id_z 1
		.amdhsa_system_sgpr_workgroup_info 0
		.amdhsa_system_vgpr_workitem_id 2
		.amdhsa_next_free_vgpr 44
		.amdhsa_next_free_sgpr 36
		.amdhsa_reserve_vcc 1
		.amdhsa_reserve_flat_scratch 1
		.amdhsa_float_round_mode_32 0
		.amdhsa_float_round_mode_16_64 0
		.amdhsa_float_denorm_mode_32 3
		.amdhsa_float_denorm_mode_16_64 3
		.amdhsa_dx10_clamp 1
		.amdhsa_ieee_mode 1
		.amdhsa_fp16_overflow 0
		.amdhsa_exception_fp_ieee_invalid_op 0
		.amdhsa_exception_fp_denorm_src 0
		.amdhsa_exception_fp_ieee_div_zero 0
		.amdhsa_exception_fp_ieee_overflow 0
		.amdhsa_exception_fp_ieee_underflow 0
		.amdhsa_exception_fp_ieee_inexact 0
		.amdhsa_exception_int_div_zero 0
	.end_amdhsa_kernel
	.text
.Lfunc_end67:
	.size	Transform_I8_S_111_16_16_VW_4, .Lfunc_end67-Transform_I8_S_111_16_16_VW_4
                                        ; -- End function
	.set Transform_I8_S_111_16_16_VW_4.num_vgpr, max(44, .L__assert_fail.num_vgpr)
	.set Transform_I8_S_111_16_16_VW_4.num_agpr, max(0, .L__assert_fail.num_agpr)
	.set Transform_I8_S_111_16_16_VW_4.numbered_sgpr, max(36, .L__assert_fail.numbered_sgpr)
	.set Transform_I8_S_111_16_16_VW_4.num_named_barrier, max(0, .L__assert_fail.num_named_barrier)
	.set Transform_I8_S_111_16_16_VW_4.private_seg_size, 0+max(.L__assert_fail.private_seg_size)
	.set Transform_I8_S_111_16_16_VW_4.uses_vcc, or(1, .L__assert_fail.uses_vcc)
	.set Transform_I8_S_111_16_16_VW_4.uses_flat_scratch, or(1, .L__assert_fail.uses_flat_scratch)
	.set Transform_I8_S_111_16_16_VW_4.has_dyn_sized_stack, or(0, .L__assert_fail.has_dyn_sized_stack)
	.set Transform_I8_S_111_16_16_VW_4.has_recursion, or(0, .L__assert_fail.has_recursion)
	.set Transform_I8_S_111_16_16_VW_4.has_indirect_call, or(0, .L__assert_fail.has_indirect_call)
	.section	.AMDGPU.csdata,"",@progbits
; Kernel info:
; codeLenInByte = 1420
; TotalNumSgprs: 42
; NumVgprs: 44
; ScratchSize: 64
; MemoryBound: 0
; FloatMode: 240
; IeeeMode: 1
; LDSByteSize: 4096 bytes/workgroup (compile time only)
; SGPRBlocks: 5
; VGPRBlocks: 10
; NumSGPRsForWavesPerEU: 42
; NumVGPRsForWavesPerEU: 44
; Occupancy: 5
; WaveLimiterHint : 1
; COMPUTE_PGM_RSRC2:SCRATCH_EN: 1
; COMPUTE_PGM_RSRC2:USER_SGPR: 10
; COMPUTE_PGM_RSRC2:TRAP_HANDLER: 0
; COMPUTE_PGM_RSRC2:TGID_X_EN: 1
; COMPUTE_PGM_RSRC2:TGID_Y_EN: 0
; COMPUTE_PGM_RSRC2:TGID_Z_EN: 1
; COMPUTE_PGM_RSRC2:TIDIG_COMP_CNT: 2
	.text
	.protected	Transform_I8_S_110_16_16_VW_1 ; -- Begin function Transform_I8_S_110_16_16_VW_1
	.globl	Transform_I8_S_110_16_16_VW_1
	.p2align	8
	.type	Transform_I8_S_110_16_16_VW_1,@function
Transform_I8_S_110_16_16_VW_1:          ; @Transform_I8_S_110_16_16_VW_1
; %bb.0:
	s_mov_b64 s[26:27], s[4:5]
	s_load_dword s4, s[4:5], 0x64
	s_add_u32 flat_scratch_lo, s6, s10
	s_addc_u32 flat_scratch_hi, s7, 0
	s_add_u32 s0, s0, s10
	s_addc_u32 s1, s1, 0
	s_waitcnt lgkmcnt(0)
	s_and_b32 s4, s4, 0xffff
	s_mov_b32 s28, s9
	s_mov_b32 s29, s8
	v_mov_b32_e32 v41, v0
	s_cmpk_eq_i32 s4, 0x100
	s_mov_b64 s[4:5], -1
	s_mov_b32 s32, 0
	s_cbranch_scc1 .LBB68_2
; %bb.1:
	s_add_u32 s8, s26, 0x58
	s_addc_u32 s9, s27, 0
	s_getpc_b64 s[4:5]
	s_add_u32 s4, s4, __PRETTY_FUNCTION__._ZN10amd_detail9transformIafLb1ELb1ELb0ELj16ELj16ELj1EEEvPT_PKS1_S4_T0_PKS5_S5_S7_jjjjjjbb@rel32@lo+4
	s_addc_u32 s5, s5, __PRETTY_FUNCTION__._ZN10amd_detail9transformIafLb1ELb1ELb0ELj16ELj16ELj1EEEvPT_PKS1_S4_T0_PKS5_S5_S7_jjjjjjbb@rel32@hi+12
	s_getpc_b64 s[6:7]
	s_add_u32 s6, s6, __assert_fail@rel32@lo+4
	s_addc_u32 s7, s7, __assert_fail@rel32@hi+12
	v_mov_b32_e32 v0, s4
	v_mov_b32_e32 v1, s5
	s_swappc_b64 s[30:31], s[6:7]
	s_mov_b64 s[4:5], 0
	; divergent unreachable
.LBB68_2:
	s_andn2_b64 vcc, exec, s[4:5]
	s_cbranch_vccnz .LBB68_13
; %bb.3:
	s_load_dwordx8 s[4:11], s[26:27], 0x38
	s_waitcnt lgkmcnt(0)
	s_lshr_b32 s11, s4, 4
	s_and_b32 s12, s4, 15
	s_cmp_lg_u32 s12, 0
	s_cselect_b64 s[12:13], -1, 0
	s_cmp_lg_u64 s[12:13], 0
	s_addc_u32 s11, s11, 0
	v_cvt_f32_u32_e32 v0, s11
	s_load_dword s15, s[26:27], 0x18
	s_load_dwordx2 s[12:13], s[26:27], 0x20
	s_sub_i32 s14, 0, s11
	v_rcp_iflag_f32_e32 v0, v0
	v_mul_f32_e32 v0, 0x4f7ffffe, v0
	v_cvt_u32_f32_e32 v0, v0
	v_readfirstlane_b32 s16, v0
	s_mul_i32 s14, s14, s16
	s_mul_hi_u32 s14, s16, s14
	s_add_i32 s16, s16, s14
	s_mul_hi_u32 s14, s29, s16
	s_waitcnt lgkmcnt(0)
	s_cmp_eq_u64 s[12:13], 0
	v_mov_b32_e32 v0, s15
	s_cbranch_scc1 .LBB68_5
; %bb.4:
	v_mov_b32_e32 v0, 0
	global_load_dword v0, v0, s[12:13]
.LBB68_5:
	s_load_dwordx2 s[12:13], s[26:27], 0x30
	s_load_dword s15, s[26:27], 0x28
	s_waitcnt lgkmcnt(0)
	s_cmp_eq_u64 s[12:13], 0
	v_mov_b32_e32 v1, s15
	s_cbranch_scc1 .LBB68_7
; %bb.6:
	v_mov_b32_e32 v1, 0
	global_load_dword v1, v1, s[12:13]
.LBB68_7:
	s_mul_i32 s12, s14, s11
	s_sub_i32 s12, s29, s12
	s_add_i32 s13, s14, 1
	s_sub_i32 s15, s12, s11
	s_cmp_ge_u32 s12, s11
	s_cselect_b32 s13, s13, s14
	s_cselect_b32 s12, s15, s12
	s_add_i32 s14, s13, 1
	s_cmp_ge_u32 s12, s11
	s_cselect_b32 s12, s14, s13
	s_mul_i32 s11, s12, s11
	s_sub_i32 s11, s29, s11
	v_and_b32_e32 v2, 15, v41
	v_lshrrev_b32_e32 v3, 4, v41
	v_lshl_or_b32 v2, s11, 4, v2
	v_lshl_add_u32 v3, s12, 4, v3
	v_cmp_gt_u32_e32 vcc, s4, v2
	v_cmp_gt_u32_e64 s[4:5], s5, v3
	s_and_b64 s[4:5], vcc, s[4:5]
	s_and_saveexec_b64 s[12:13], s[4:5]
	s_cbranch_execz .LBB68_13
; %bb.8:
	s_load_dwordx4 s[12:15], s[26:27], 0x0
	s_load_dwordx2 s[4:5], s[26:27], 0x10
	s_mul_i32 s9, s9, s28
	v_mov_b32_e32 v5, 0
	v_mov_b32_e32 v4, 0
	s_waitcnt lgkmcnt(0)
	s_cmp_eq_u64 s[14:15], 0
	s_cbranch_scc1 .LBB68_10
; %bb.9:
	s_bitcmp1_b32 s10, 0
	s_cselect_b64 vcc, -1, 0
	v_cndmask_b32_e32 v4, v2, v3, vcc
	v_mul_lo_u32 v4, v4, s6
	v_cndmask_b32_e32 v6, v3, v2, vcc
	v_add3_u32 v4, v6, s9, v4
	global_load_sbyte v4, v4, s[14:15]
	s_waitcnt vmcnt(0)
	v_cvt_f32_i32_e32 v4, v4
.LBB68_10:
	s_cmp_eq_u64 s[4:5], 0
	s_cbranch_scc1 .LBB68_12
; %bb.11:
	s_load_dword s6, s[26:27], 0x50
	s_waitcnt lgkmcnt(0)
	s_bitcmp1_b32 s6, 8
	s_cselect_b64 vcc, -1, 0
	v_cndmask_b32_e32 v5, v2, v3, vcc
	v_mul_lo_u32 v5, v5, s7
	v_cndmask_b32_e32 v6, v3, v2, vcc
	v_add3_u32 v5, v6, s9, v5
	global_load_sbyte v5, v5, s[4:5]
	s_waitcnt vmcnt(0)
	v_cvt_f32_i32_e32 v5, v5
.LBB68_12:
	s_waitcnt vmcnt(0)
	v_mul_f32_e32 v1, v1, v5
	v_fmac_f32_e32 v1, v0, v4
	v_mul_lo_u32 v0, v3, s8
	v_cvt_i32_f32_e32 v1, v1
	v_add3_u32 v0, v2, s9, v0
	global_store_byte v0, v1, s[12:13]
.LBB68_13:
	s_endpgm
	.section	.rodata,"a",@progbits
	.p2align	6, 0x0
	.amdhsa_kernel Transform_I8_S_110_16_16_VW_1
		.amdhsa_group_segment_fixed_size 0
		.amdhsa_private_segment_fixed_size 64
		.amdhsa_kernarg_size 344
		.amdhsa_user_sgpr_count 8
		.amdhsa_user_sgpr_private_segment_buffer 1
		.amdhsa_user_sgpr_dispatch_ptr 0
		.amdhsa_user_sgpr_queue_ptr 0
		.amdhsa_user_sgpr_kernarg_segment_ptr 1
		.amdhsa_user_sgpr_dispatch_id 0
		.amdhsa_user_sgpr_flat_scratch_init 1
		.amdhsa_user_sgpr_private_segment_size 0
		.amdhsa_uses_dynamic_stack 0
		.amdhsa_system_sgpr_private_segment_wavefront_offset 1
		.amdhsa_system_sgpr_workgroup_id_x 1
		.amdhsa_system_sgpr_workgroup_id_y 0
		.amdhsa_system_sgpr_workgroup_id_z 1
		.amdhsa_system_sgpr_workgroup_info 0
		.amdhsa_system_vgpr_workitem_id 0
		.amdhsa_next_free_vgpr 42
		.amdhsa_next_free_sgpr 34
		.amdhsa_reserve_vcc 1
		.amdhsa_reserve_flat_scratch 1
		.amdhsa_float_round_mode_32 0
		.amdhsa_float_round_mode_16_64 0
		.amdhsa_float_denorm_mode_32 3
		.amdhsa_float_denorm_mode_16_64 3
		.amdhsa_dx10_clamp 1
		.amdhsa_ieee_mode 1
		.amdhsa_fp16_overflow 0
		.amdhsa_exception_fp_ieee_invalid_op 0
		.amdhsa_exception_fp_denorm_src 0
		.amdhsa_exception_fp_ieee_div_zero 0
		.amdhsa_exception_fp_ieee_overflow 0
		.amdhsa_exception_fp_ieee_underflow 0
		.amdhsa_exception_fp_ieee_inexact 0
		.amdhsa_exception_int_div_zero 0
	.end_amdhsa_kernel
	.text
.Lfunc_end68:
	.size	Transform_I8_S_110_16_16_VW_1, .Lfunc_end68-Transform_I8_S_110_16_16_VW_1
                                        ; -- End function
	.set Transform_I8_S_110_16_16_VW_1.num_vgpr, max(42, .L__assert_fail.num_vgpr)
	.set Transform_I8_S_110_16_16_VW_1.num_agpr, max(0, .L__assert_fail.num_agpr)
	.set Transform_I8_S_110_16_16_VW_1.numbered_sgpr, max(33, .L__assert_fail.numbered_sgpr)
	.set Transform_I8_S_110_16_16_VW_1.num_named_barrier, max(0, .L__assert_fail.num_named_barrier)
	.set Transform_I8_S_110_16_16_VW_1.private_seg_size, 0+max(.L__assert_fail.private_seg_size)
	.set Transform_I8_S_110_16_16_VW_1.uses_vcc, or(1, .L__assert_fail.uses_vcc)
	.set Transform_I8_S_110_16_16_VW_1.uses_flat_scratch, or(1, .L__assert_fail.uses_flat_scratch)
	.set Transform_I8_S_110_16_16_VW_1.has_dyn_sized_stack, or(0, .L__assert_fail.has_dyn_sized_stack)
	.set Transform_I8_S_110_16_16_VW_1.has_recursion, or(0, .L__assert_fail.has_recursion)
	.set Transform_I8_S_110_16_16_VW_1.has_indirect_call, or(0, .L__assert_fail.has_indirect_call)
	.section	.AMDGPU.csdata,"",@progbits
; Kernel info:
; codeLenInByte = 608
; TotalNumSgprs: 40
; NumVgprs: 42
; ScratchSize: 64
; MemoryBound: 0
; FloatMode: 240
; IeeeMode: 1
; LDSByteSize: 0 bytes/workgroup (compile time only)
; SGPRBlocks: 4
; VGPRBlocks: 10
; NumSGPRsForWavesPerEU: 40
; NumVGPRsForWavesPerEU: 42
; Occupancy: 5
; WaveLimiterHint : 1
; COMPUTE_PGM_RSRC2:SCRATCH_EN: 1
; COMPUTE_PGM_RSRC2:USER_SGPR: 8
; COMPUTE_PGM_RSRC2:TRAP_HANDLER: 0
; COMPUTE_PGM_RSRC2:TGID_X_EN: 1
; COMPUTE_PGM_RSRC2:TGID_Y_EN: 0
; COMPUTE_PGM_RSRC2:TGID_Z_EN: 1
; COMPUTE_PGM_RSRC2:TIDIG_COMP_CNT: 0
	.text
	.protected	Transform_I8_S_110_16_16_VW_4 ; -- Begin function Transform_I8_S_110_16_16_VW_4
	.globl	Transform_I8_S_110_16_16_VW_4
	.p2align	8
	.type	Transform_I8_S_110_16_16_VW_4,@function
Transform_I8_S_110_16_16_VW_4:          ; @Transform_I8_S_110_16_16_VW_4
; %bb.0:
	s_mov_b64 s[26:27], s[4:5]
	s_load_dword s4, s[6:7], 0x64
	s_add_u32 flat_scratch_lo, s8, s12
	s_addc_u32 flat_scratch_hi, s9, 0
	s_add_u32 s0, s0, s12
	s_addc_u32 s1, s1, 0
	s_waitcnt lgkmcnt(0)
	s_and_b32 s4, s4, 0xffff
	s_mov_b32 s35, s11
	s_mov_b32 s34, s10
	s_mov_b64 s[28:29], s[6:7]
	v_mov_b32_e32 v41, v2
	v_mov_b32_e32 v42, v1
	;; [unrolled: 1-line block ×3, first 2 shown]
	s_cmpk_eq_i32 s4, 0x100
	s_mov_b64 s[4:5], -1
	s_mov_b32 s32, 0
	s_cbranch_scc1 .LBB69_2
; %bb.1:
	s_add_u32 s8, s28, 0x58
	s_addc_u32 s9, s29, 0
	s_getpc_b64 s[4:5]
	s_add_u32 s4, s4, __PRETTY_FUNCTION__._ZN10amd_detail9transformIafLb1ELb1ELb0ELj16ELj16ELj4EEEvPT_PKS1_S4_T0_PKS5_S5_S7_jjjjjjbb@rel32@lo+4
	s_addc_u32 s5, s5, __PRETTY_FUNCTION__._ZN10amd_detail9transformIafLb1ELb1ELb0ELj16ELj16ELj4EEEvPT_PKS1_S4_T0_PKS5_S5_S7_jjjjjjbb@rel32@hi+12
	s_getpc_b64 s[6:7]
	s_add_u32 s6, s6, __assert_fail@rel32@lo+4
	s_addc_u32 s7, s7, __assert_fail@rel32@hi+12
	v_mov_b32_e32 v0, s4
	v_mov_b32_e32 v1, s5
	s_swappc_b64 s[30:31], s[6:7]
	s_mov_b64 s[4:5], 0
	; divergent unreachable
.LBB69_2:
	s_andn2_b64 vcc, exec, s[4:5]
	s_cbranch_vccnz .LBB69_54
; %bb.3:
	s_load_dwordx8 s[12:19], s[28:29], 0x38
	s_waitcnt lgkmcnt(0)
	s_lshr_b32 s6, s12, 6
	s_and_b32 s4, s12, 63
	s_cmp_lg_u32 s4, 0
	s_cselect_b64 s[4:5], -1, 0
	s_cmp_lg_u64 s[4:5], 0
	s_addc_u32 s6, s6, 0
	v_cvt_f32_u32_e32 v0, s6
	s_load_dword s8, s[28:29], 0x18
	s_load_dwordx2 s[4:5], s[28:29], 0x20
	s_sub_i32 s7, 0, s6
	v_rcp_iflag_f32_e32 v0, v0
	s_waitcnt lgkmcnt(0)
	v_mov_b32_e32 v8, s8
	v_mul_f32_e32 v0, 0x4f7ffffe, v0
	v_cvt_u32_f32_e32 v0, v0
	v_readfirstlane_b32 s9, v0
	s_mul_i32 s7, s7, s9
	s_mul_hi_u32 s7, s9, s7
	s_add_i32 s9, s9, s7
	s_mul_hi_u32 s7, s34, s9
	s_cmp_eq_u64 s[4:5], 0
	s_cbranch_scc1 .LBB69_5
; %bb.4:
	v_mov_b32_e32 v0, 0
	global_load_dword v8, v0, s[4:5]
.LBB69_5:
	s_load_dwordx2 s[4:5], s[28:29], 0x30
	s_load_dword s8, s[28:29], 0x28
	s_waitcnt lgkmcnt(0)
	s_cmp_eq_u64 s[4:5], 0
	v_mov_b32_e32 v11, s8
	s_cbranch_scc1 .LBB69_7
; %bb.6:
	v_mov_b32_e32 v0, 0
	global_load_dword v11, v0, s[4:5]
.LBB69_7:
	s_mul_i32 s4, s7, s6
	s_sub_i32 s4, s34, s4
	s_add_i32 s5, s7, 1
	s_sub_i32 s8, s4, s6
	s_cmp_ge_u32 s4, s6
	s_cselect_b32 s5, s5, s7
	s_cselect_b32 s4, s8, s4
	s_add_i32 s7, s5, 1
	s_cmp_ge_u32 s4, s6
	s_cselect_b32 s30, s7, s5
	v_lshrrev_b32_e32 v0, 4, v43
	v_lshl_add_u32 v0, s30, 4, v0
	v_cmp_gt_u32_e32 vcc, s13, v0
	s_and_saveexec_b64 s[4:5], vcc
	s_cbranch_execz .LBB69_54
; %bb.8:
	s_mul_i32 s30, s30, s6
	v_lshlrev_b32_e32 v1, 2, v43
	s_sub_i32 s4, s34, s30
	v_and_b32_e32 v9, 60, v1
	v_lshl_or_b32 v12, s4, 6, v9
	v_add_u32_e32 v13, 4, v12
	s_load_dwordx4 s[20:23], s[28:29], 0x0
	s_load_dwordx2 s[24:25], s[28:29], 0x10
	v_sub_u32_e64 v10, v13, s12 clamp
	v_sub_u32_e32 v4, v12, v10
	v_mad_u64_u32 v[1:2], s[4:5], v0, s14, v[4:5]
	s_bitcmp1_b32 s18, 0
	s_cselect_b64 vcc, -1, 0
	s_waitcnt lgkmcnt(0)
	s_cmp_lg_u64 s[22:23], 0
	s_mul_i32 s13, s17, s35
	s_cselect_b64 s[10:11], -1, 0
	s_cmp_eq_u64 s[22:23], 0
	v_mov_b32_e32 v15, 0
	v_mov_b32_e32 v14, 0
	s_cbranch_scc1 .LBB69_10
; %bb.9:
	v_mad_u64_u32 v[2:3], s[4:5], v4, s14, v[0:1]
	v_cndmask_b32_e32 v2, v2, v1, vcc
	v_add_u32_e32 v2, s13, v2
	global_load_sbyte v2, v2, s[22:23]
	s_waitcnt vmcnt(0)
	v_cvt_f32_i32_e32 v14, v2
.LBB69_10:
	s_load_dword s6, s[28:29], 0x50
	s_xor_b64 s[8:9], vcc, -1
	v_mad_u64_u32 v[2:3], s[4:5], v0, s15, v[4:5]
	s_waitcnt lgkmcnt(0)
	s_bitcmp1_b32 s6, 8
	s_cselect_b64 s[6:7], -1, 0
	s_cmp_lg_u64 s[24:25], 0
	s_cselect_b64 s[18:19], -1, 0
	s_cmp_eq_u64 s[24:25], 0
	s_cbranch_scc1 .LBB69_12
; %bb.11:
	v_mad_u64_u32 v[5:6], s[4:5], v4, s15, v[0:1]
	v_cndmask_b32_e64 v3, v5, v2, s[6:7]
	v_add_u32_e32 v3, s13, v3
	global_load_sbyte v3, v3, s[24:25]
	s_waitcnt vmcnt(0)
	v_cvt_f32_i32_e32 v15, v3
.LBB69_12:
	v_cndmask_b32_e64 v3, 0, 1, s[8:9]
	v_cmp_ne_u32_e64 s[4:5], 1, v3
	s_andn2_b64 vcc, exec, s[8:9]
	s_cbranch_vccnz .LBB69_14
; %bb.13:
	v_mul_lo_u32 v3, s14, v4
	v_add3_u32 v3, v3, s14, v0
	s_xor_b64 s[8:9], s[6:7], -1
	s_cbranch_execz .LBB69_15
	s_branch .LBB69_16
.LBB69_14:
                                        ; implicit-def: $vgpr3
	s_xor_b64 s[8:9], s[6:7], -1
.LBB69_15:
	v_add_u32_e32 v3, 1, v1
.LBB69_16:
	v_cndmask_b32_e64 v5, 0, 1, s[8:9]
	v_cmp_ne_u32_e64 s[6:7], 1, v5
	s_andn2_b64 vcc, exec, s[8:9]
	s_cbranch_vccnz .LBB69_18
; %bb.17:
	v_mul_lo_u32 v5, s15, v4
	v_add3_u32 v5, v5, s15, v0
	s_cbranch_execz .LBB69_19
	s_branch .LBB69_20
.LBB69_18:
                                        ; implicit-def: $vgpr5
.LBB69_19:
	v_add_u32_e32 v5, 1, v2
.LBB69_20:
	v_cndmask_b32_e64 v6, 0, 1, s[10:11]
	v_mov_b32_e32 v17, 0
	v_cmp_ne_u32_e64 s[8:9], 1, v6
	s_andn2_b64 vcc, exec, s[10:11]
	v_mov_b32_e32 v16, 0
	s_cbranch_vccnz .LBB69_22
; %bb.21:
	v_add_u32_e32 v3, s13, v3
	global_load_sbyte v3, v3, s[22:23]
	s_waitcnt vmcnt(0)
	v_cvt_f32_i32_e32 v16, v3
.LBB69_22:
	v_cndmask_b32_e64 v3, 0, 1, s[18:19]
	v_cmp_ne_u32_e64 s[10:11], 1, v3
	s_andn2_b64 vcc, exec, s[18:19]
	s_cbranch_vccnz .LBB69_24
; %bb.23:
	v_add_u32_e32 v3, s13, v5
	global_load_sbyte v3, v3, s[24:25]
	s_waitcnt vmcnt(0)
	v_cvt_f32_i32_e32 v17, v3
.LBB69_24:
	s_and_b64 vcc, exec, s[4:5]
	v_add_u32_e32 v3, 2, v4
	s_cbranch_vccnz .LBB69_26
; %bb.25:
	v_mad_u64_u32 v[5:6], s[18:19], v3, s14, v[0:1]
	s_cbranch_execz .LBB69_27
	s_branch .LBB69_28
.LBB69_26:
                                        ; implicit-def: $vgpr5
.LBB69_27:
	v_add_u32_e32 v5, 2, v1
.LBB69_28:
	s_and_b64 vcc, exec, s[6:7]
	s_cbranch_vccnz .LBB69_30
; %bb.29:
	v_mad_u64_u32 v[6:7], s[18:19], v3, s15, v[0:1]
	s_cbranch_execz .LBB69_31
	s_branch .LBB69_32
.LBB69_30:
                                        ; implicit-def: $vgpr6
.LBB69_31:
	v_add_u32_e32 v6, 2, v2
.LBB69_32:
	v_mov_b32_e32 v18, 0
	s_and_b64 vcc, exec, s[8:9]
	v_mov_b32_e32 v7, 0
	s_cbranch_vccnz .LBB69_34
; %bb.33:
	v_add_u32_e32 v3, s13, v5
	global_load_sbyte v3, v3, s[22:23]
	s_waitcnt vmcnt(0)
	v_cvt_f32_i32_e32 v7, v3
.LBB69_34:
	s_and_b64 vcc, exec, s[10:11]
	s_cbranch_vccnz .LBB69_36
; %bb.35:
	v_add_u32_e32 v3, s13, v6
	global_load_sbyte v3, v3, s[24:25]
	s_waitcnt vmcnt(0)
	v_cvt_f32_i32_e32 v18, v3
.LBB69_36:
	s_and_b64 vcc, exec, s[4:5]
	v_add_u32_e32 v5, 3, v4
	s_cbranch_vccnz .LBB69_38
; %bb.37:
	v_mad_u64_u32 v[3:4], s[4:5], v5, s14, v[0:1]
	s_cbranch_execz .LBB69_39
	s_branch .LBB69_40
.LBB69_38:
                                        ; implicit-def: $vgpr3
.LBB69_39:
	v_add_u32_e32 v3, 3, v1
.LBB69_40:
	s_and_b64 vcc, exec, s[6:7]
	s_cbranch_vccnz .LBB69_42
; %bb.41:
	v_mad_u64_u32 v[4:5], s[4:5], v5, s15, v[0:1]
	s_cbranch_execz .LBB69_43
	s_branch .LBB69_44
.LBB69_42:
                                        ; implicit-def: $vgpr4
.LBB69_43:
	v_add_u32_e32 v4, 3, v2
.LBB69_44:
	v_mov_b32_e32 v5, 0
	s_and_b64 vcc, exec, s[8:9]
	v_mov_b32_e32 v2, 0
	s_cbranch_vccnz .LBB69_46
; %bb.45:
	v_add_u32_e32 v1, s13, v3
	global_load_sbyte v1, v1, s[22:23]
	s_waitcnt vmcnt(0)
	v_cvt_f32_i32_e32 v2, v1
.LBB69_46:
	s_and_b64 vcc, exec, s[10:11]
	s_cbranch_vccnz .LBB69_48
; %bb.47:
	v_add_u32_e32 v1, s13, v4
	global_load_sbyte v1, v1, s[24:25]
	s_waitcnt vmcnt(0)
	v_cvt_f32_i32_e32 v5, v1
.LBB69_48:
	s_load_dwordx2 s[4:5], s[26:27], 0x4
	s_waitcnt vmcnt(0)
	v_mul_f32_e32 v3, v11, v17
	v_mul_f32_e32 v5, v11, v5
	;; [unrolled: 1-line block ×4, first 2 shown]
	s_waitcnt lgkmcnt(0)
	s_lshr_b32 s4, s4, 16
	v_fmac_f32_e32 v3, v8, v16
	v_fmac_f32_e32 v5, v8, v2
	;; [unrolled: 1-line block ×3, first 2 shown]
	s_mul_i32 s4, s4, s5
	v_cvt_i32_f32_e32 v3, v3
	v_fmac_f32_e32 v6, v8, v7
	v_cvt_i32_f32_e32 v2, v5
	v_mul_lo_u32 v14, s4, v43
	v_cvt_i32_f32_e32 v4, v1
	v_cvt_i32_f32_e32 v5, v6
	v_mul_lo_u32 v0, v0, s16
	v_lshlrev_b16_e32 v6, 8, v3
	v_lshlrev_b16_e32 v7, 8, v2
	v_mad_u32_u24 v1, v42, s5, v14
	v_or_b32_sdwa v6, v4, v6 dst_sel:DWORD dst_unused:UNUSED_PAD src0_sel:BYTE_0 src1_sel:DWORD
	v_or_b32_sdwa v7, v5, v7 dst_sel:WORD_1 dst_unused:UNUSED_PAD src0_sel:BYTE_0 src1_sel:DWORD
	v_add_lshl_u32 v1, v1, v41, 2
	v_or_b32_sdwa v6, v6, v7 dst_sel:DWORD dst_unused:UNUSED_PAD src0_sel:WORD_0 src1_sel:DWORD
	v_cmp_ge_u32_e32 vcc, s12, v13
	ds_write_b32 v1, v6
	s_and_saveexec_b64 s[4:5], vcc
	s_xor_b64 s[4:5], exec, s[4:5]
	s_cbranch_execz .LBB69_50
; %bb.49:
	v_add_u32_e32 v1, s13, v12
	v_sub_u32_e32 v1, v1, v10
	v_add_u32_e32 v0, v1, v0
	v_add_u32_e32 v1, 1, v0
	global_store_byte v0, v4, s[20:21]
	global_store_byte v1, v3, s[20:21]
	v_add_u32_e32 v1, 2, v0
	v_add_u32_e32 v0, 3, v0
	global_store_byte v1, v5, s[20:21]
	global_store_byte v0, v2, s[20:21]
                                        ; implicit-def: $vgpr10
                                        ; implicit-def: $vgpr1
                                        ; implicit-def: $vgpr9
                                        ; implicit-def: $vgpr0
.LBB69_50:
	s_andn2_saveexec_b64 s[4:5], s[4:5]
	s_cbranch_execz .LBB69_54
; %bb.51:
	v_cmp_gt_u32_e32 vcc, 4, v10
	s_and_b64 exec, exec, vcc
	s_cbranch_execz .LBB69_54
; %bb.52:
	v_lshl_or_b32 v3, s34, 6, v9
	s_lshl_b32 s4, s30, 6
	v_subrev_u32_e32 v2, s4, v3
	v_add_u32_e32 v4, 4, v2
	v_min_u32_e32 v4, s12, v4
	v_sub_u32_e32 v2, v2, v4
	v_add3_u32 v0, s13, v0, v3
	v_add_u32_e32 v2, 3, v2
	v_subrev_u32_e32 v0, s4, v0
	s_mov_b64 s[4:5], 0
.LBB69_53:                              ; =>This Inner Loop Header: Depth=1
	v_add_u32_e32 v3, v1, v2
	ds_read_u8 v3, v3 offset:1
	v_add_u32_e32 v2, 1, v2
	v_cmp_lt_u32_e32 vcc, 2, v2
	s_or_b64 s[4:5], vcc, s[4:5]
	s_waitcnt lgkmcnt(0)
	global_store_byte v0, v3, s[20:21]
	v_add_u32_e32 v0, 1, v0
	s_andn2_b64 exec, exec, s[4:5]
	s_cbranch_execnz .LBB69_53
.LBB69_54:
	s_endpgm
	.section	.rodata,"a",@progbits
	.p2align	6, 0x0
	.amdhsa_kernel Transform_I8_S_110_16_16_VW_4
		.amdhsa_group_segment_fixed_size 4096
		.amdhsa_private_segment_fixed_size 64
		.amdhsa_kernarg_size 344
		.amdhsa_user_sgpr_count 10
		.amdhsa_user_sgpr_private_segment_buffer 1
		.amdhsa_user_sgpr_dispatch_ptr 1
		.amdhsa_user_sgpr_queue_ptr 0
		.amdhsa_user_sgpr_kernarg_segment_ptr 1
		.amdhsa_user_sgpr_dispatch_id 0
		.amdhsa_user_sgpr_flat_scratch_init 1
		.amdhsa_user_sgpr_private_segment_size 0
		.amdhsa_uses_dynamic_stack 0
		.amdhsa_system_sgpr_private_segment_wavefront_offset 1
		.amdhsa_system_sgpr_workgroup_id_x 1
		.amdhsa_system_sgpr_workgroup_id_y 0
		.amdhsa_system_sgpr_workgroup_id_z 1
		.amdhsa_system_sgpr_workgroup_info 0
		.amdhsa_system_vgpr_workitem_id 2
		.amdhsa_next_free_vgpr 44
		.amdhsa_next_free_sgpr 36
		.amdhsa_reserve_vcc 1
		.amdhsa_reserve_flat_scratch 1
		.amdhsa_float_round_mode_32 0
		.amdhsa_float_round_mode_16_64 0
		.amdhsa_float_denorm_mode_32 3
		.amdhsa_float_denorm_mode_16_64 3
		.amdhsa_dx10_clamp 1
		.amdhsa_ieee_mode 1
		.amdhsa_fp16_overflow 0
		.amdhsa_exception_fp_ieee_invalid_op 0
		.amdhsa_exception_fp_denorm_src 0
		.amdhsa_exception_fp_ieee_div_zero 0
		.amdhsa_exception_fp_ieee_overflow 0
		.amdhsa_exception_fp_ieee_underflow 0
		.amdhsa_exception_fp_ieee_inexact 0
		.amdhsa_exception_int_div_zero 0
	.end_amdhsa_kernel
	.text
.Lfunc_end69:
	.size	Transform_I8_S_110_16_16_VW_4, .Lfunc_end69-Transform_I8_S_110_16_16_VW_4
                                        ; -- End function
	.set Transform_I8_S_110_16_16_VW_4.num_vgpr, max(44, .L__assert_fail.num_vgpr)
	.set Transform_I8_S_110_16_16_VW_4.num_agpr, max(0, .L__assert_fail.num_agpr)
	.set Transform_I8_S_110_16_16_VW_4.numbered_sgpr, max(36, .L__assert_fail.numbered_sgpr)
	.set Transform_I8_S_110_16_16_VW_4.num_named_barrier, max(0, .L__assert_fail.num_named_barrier)
	.set Transform_I8_S_110_16_16_VW_4.private_seg_size, 0+max(.L__assert_fail.private_seg_size)
	.set Transform_I8_S_110_16_16_VW_4.uses_vcc, or(1, .L__assert_fail.uses_vcc)
	.set Transform_I8_S_110_16_16_VW_4.uses_flat_scratch, or(1, .L__assert_fail.uses_flat_scratch)
	.set Transform_I8_S_110_16_16_VW_4.has_dyn_sized_stack, or(0, .L__assert_fail.has_dyn_sized_stack)
	.set Transform_I8_S_110_16_16_VW_4.has_recursion, or(0, .L__assert_fail.has_recursion)
	.set Transform_I8_S_110_16_16_VW_4.has_indirect_call, or(0, .L__assert_fail.has_indirect_call)
	.section	.AMDGPU.csdata,"",@progbits
; Kernel info:
; codeLenInByte = 1400
; TotalNumSgprs: 42
; NumVgprs: 44
; ScratchSize: 64
; MemoryBound: 0
; FloatMode: 240
; IeeeMode: 1
; LDSByteSize: 4096 bytes/workgroup (compile time only)
; SGPRBlocks: 5
; VGPRBlocks: 10
; NumSGPRsForWavesPerEU: 42
; NumVGPRsForWavesPerEU: 44
; Occupancy: 5
; WaveLimiterHint : 1
; COMPUTE_PGM_RSRC2:SCRATCH_EN: 1
; COMPUTE_PGM_RSRC2:USER_SGPR: 10
; COMPUTE_PGM_RSRC2:TRAP_HANDLER: 0
; COMPUTE_PGM_RSRC2:TGID_X_EN: 1
; COMPUTE_PGM_RSRC2:TGID_Y_EN: 0
; COMPUTE_PGM_RSRC2:TGID_Z_EN: 1
; COMPUTE_PGM_RSRC2:TIDIG_COMP_CNT: 2
	.text
	.protected	Transform_I8_S_101_16_16_VW_1 ; -- Begin function Transform_I8_S_101_16_16_VW_1
	.globl	Transform_I8_S_101_16_16_VW_1
	.p2align	8
	.type	Transform_I8_S_101_16_16_VW_1,@function
Transform_I8_S_101_16_16_VW_1:          ; @Transform_I8_S_101_16_16_VW_1
; %bb.0:
	s_mov_b64 s[26:27], s[4:5]
	s_load_dword s4, s[4:5], 0x64
	s_add_u32 flat_scratch_lo, s6, s10
	s_addc_u32 flat_scratch_hi, s7, 0
	s_add_u32 s0, s0, s10
	s_addc_u32 s1, s1, 0
	s_waitcnt lgkmcnt(0)
	s_and_b32 s4, s4, 0xffff
	s_mov_b32 s28, s9
	s_mov_b32 s29, s8
	v_mov_b32_e32 v41, v0
	s_cmpk_eq_i32 s4, 0x100
	s_mov_b64 s[4:5], -1
	s_mov_b32 s32, 0
	s_cbranch_scc1 .LBB70_2
; %bb.1:
	s_add_u32 s8, s26, 0x58
	s_addc_u32 s9, s27, 0
	s_getpc_b64 s[4:5]
	s_add_u32 s4, s4, __PRETTY_FUNCTION__._ZN10amd_detail9transformIafLb1ELb0ELb1ELj16ELj16ELj1EEEvPT_PKS1_S4_T0_PKS5_S5_S7_jjjjjjbb@rel32@lo+4
	s_addc_u32 s5, s5, __PRETTY_FUNCTION__._ZN10amd_detail9transformIafLb1ELb0ELb1ELj16ELj16ELj1EEEvPT_PKS1_S4_T0_PKS5_S5_S7_jjjjjjbb@rel32@hi+12
	s_getpc_b64 s[6:7]
	s_add_u32 s6, s6, __assert_fail@rel32@lo+4
	s_addc_u32 s7, s7, __assert_fail@rel32@hi+12
	v_mov_b32_e32 v0, s4
	v_mov_b32_e32 v1, s5
	s_swappc_b64 s[30:31], s[6:7]
	s_mov_b64 s[4:5], 0
	; divergent unreachable
.LBB70_2:
	s_andn2_b64 vcc, exec, s[4:5]
	s_cbranch_vccnz .LBB70_13
; %bb.3:
	s_load_dwordx8 s[4:11], s[26:27], 0x38
	s_waitcnt lgkmcnt(0)
	s_lshr_b32 s11, s4, 4
	s_and_b32 s12, s4, 15
	s_cmp_lg_u32 s12, 0
	s_cselect_b64 s[12:13], -1, 0
	s_cmp_lg_u64 s[12:13], 0
	s_addc_u32 s11, s11, 0
	v_cvt_f32_u32_e32 v0, s11
	s_load_dword s15, s[26:27], 0x18
	s_load_dwordx2 s[12:13], s[26:27], 0x20
	s_sub_i32 s14, 0, s11
	v_rcp_iflag_f32_e32 v0, v0
	v_mul_f32_e32 v0, 0x4f7ffffe, v0
	v_cvt_u32_f32_e32 v0, v0
	v_readfirstlane_b32 s16, v0
	s_mul_i32 s14, s14, s16
	s_mul_hi_u32 s14, s16, s14
	s_add_i32 s16, s16, s14
	s_mul_hi_u32 s14, s29, s16
	s_waitcnt lgkmcnt(0)
	s_cmp_eq_u64 s[12:13], 0
	v_mov_b32_e32 v0, s15
	s_cbranch_scc1 .LBB70_5
; %bb.4:
	v_mov_b32_e32 v0, 0
	global_load_dword v0, v0, s[12:13]
.LBB70_5:
	s_load_dwordx2 s[12:13], s[26:27], 0x30
	s_load_dword s15, s[26:27], 0x28
	s_waitcnt lgkmcnt(0)
	s_cmp_eq_u64 s[12:13], 0
	v_mov_b32_e32 v1, s15
	s_cbranch_scc1 .LBB70_7
; %bb.6:
	v_mov_b32_e32 v1, 0
	global_load_dword v1, v1, s[12:13]
.LBB70_7:
	s_mul_i32 s12, s14, s11
	s_sub_i32 s12, s29, s12
	s_add_i32 s13, s14, 1
	s_sub_i32 s15, s12, s11
	s_cmp_ge_u32 s12, s11
	s_cselect_b32 s13, s13, s14
	s_cselect_b32 s12, s15, s12
	s_add_i32 s14, s13, 1
	s_cmp_ge_u32 s12, s11
	s_cselect_b32 s12, s14, s13
	s_mul_i32 s11, s12, s11
	s_sub_i32 s11, s29, s11
	v_and_b32_e32 v2, 15, v41
	v_lshrrev_b32_e32 v4, 4, v41
	v_lshl_or_b32 v3, s11, 4, v2
	v_lshl_add_u32 v2, s12, 4, v4
	v_cmp_gt_u32_e32 vcc, s4, v3
	v_cmp_gt_u32_e64 s[4:5], s5, v2
	s_and_b64 s[4:5], vcc, s[4:5]
	s_and_saveexec_b64 s[12:13], s[4:5]
	s_cbranch_execz .LBB70_13
; %bb.8:
	s_load_dwordx4 s[12:15], s[26:27], 0x0
	s_load_dwordx2 s[4:5], s[26:27], 0x10
	s_mul_i32 s9, s9, s28
	v_mov_b32_e32 v5, 0
	v_mov_b32_e32 v4, 0
	s_waitcnt lgkmcnt(0)
	s_cmp_eq_u64 s[14:15], 0
	s_cbranch_scc1 .LBB70_10
; %bb.9:
	s_bitcmp1_b32 s10, 0
	s_cselect_b64 vcc, -1, 0
	v_cndmask_b32_e32 v4, v3, v2, vcc
	v_mul_lo_u32 v4, v4, s6
	v_cndmask_b32_e32 v6, v2, v3, vcc
	v_add3_u32 v4, v6, s9, v4
	global_load_sbyte v4, v4, s[14:15]
	s_waitcnt vmcnt(0)
	v_cvt_f32_i32_e32 v4, v4
.LBB70_10:
	s_cmp_eq_u64 s[4:5], 0
	s_cbranch_scc1 .LBB70_12
; %bb.11:
	s_load_dword s6, s[26:27], 0x50
	s_waitcnt lgkmcnt(0)
	s_bitcmp1_b32 s6, 8
	s_cselect_b64 vcc, -1, 0
	v_cndmask_b32_e32 v5, v2, v3, vcc
	v_mul_lo_u32 v5, v5, s7
	v_cndmask_b32_e32 v6, v3, v2, vcc
	v_add3_u32 v5, v6, s9, v5
	global_load_sbyte v5, v5, s[4:5]
	s_waitcnt vmcnt(0)
	v_cvt_f32_i32_e32 v5, v5
.LBB70_12:
	s_waitcnt vmcnt(0)
	v_mul_f32_e32 v1, v1, v5
	v_fmac_f32_e32 v1, v0, v4
	v_mul_lo_u32 v0, v3, s8
	v_cvt_i32_f32_e32 v1, v1
	v_add3_u32 v0, v2, s9, v0
	global_store_byte v0, v1, s[12:13]
.LBB70_13:
	s_endpgm
	.section	.rodata,"a",@progbits
	.p2align	6, 0x0
	.amdhsa_kernel Transform_I8_S_101_16_16_VW_1
		.amdhsa_group_segment_fixed_size 0
		.amdhsa_private_segment_fixed_size 64
		.amdhsa_kernarg_size 344
		.amdhsa_user_sgpr_count 8
		.amdhsa_user_sgpr_private_segment_buffer 1
		.amdhsa_user_sgpr_dispatch_ptr 0
		.amdhsa_user_sgpr_queue_ptr 0
		.amdhsa_user_sgpr_kernarg_segment_ptr 1
		.amdhsa_user_sgpr_dispatch_id 0
		.amdhsa_user_sgpr_flat_scratch_init 1
		.amdhsa_user_sgpr_private_segment_size 0
		.amdhsa_uses_dynamic_stack 0
		.amdhsa_system_sgpr_private_segment_wavefront_offset 1
		.amdhsa_system_sgpr_workgroup_id_x 1
		.amdhsa_system_sgpr_workgroup_id_y 0
		.amdhsa_system_sgpr_workgroup_id_z 1
		.amdhsa_system_sgpr_workgroup_info 0
		.amdhsa_system_vgpr_workitem_id 0
		.amdhsa_next_free_vgpr 42
		.amdhsa_next_free_sgpr 34
		.amdhsa_reserve_vcc 1
		.amdhsa_reserve_flat_scratch 1
		.amdhsa_float_round_mode_32 0
		.amdhsa_float_round_mode_16_64 0
		.amdhsa_float_denorm_mode_32 3
		.amdhsa_float_denorm_mode_16_64 3
		.amdhsa_dx10_clamp 1
		.amdhsa_ieee_mode 1
		.amdhsa_fp16_overflow 0
		.amdhsa_exception_fp_ieee_invalid_op 0
		.amdhsa_exception_fp_denorm_src 0
		.amdhsa_exception_fp_ieee_div_zero 0
		.amdhsa_exception_fp_ieee_overflow 0
		.amdhsa_exception_fp_ieee_underflow 0
		.amdhsa_exception_fp_ieee_inexact 0
		.amdhsa_exception_int_div_zero 0
	.end_amdhsa_kernel
	.text
.Lfunc_end70:
	.size	Transform_I8_S_101_16_16_VW_1, .Lfunc_end70-Transform_I8_S_101_16_16_VW_1
                                        ; -- End function
	.set Transform_I8_S_101_16_16_VW_1.num_vgpr, max(42, .L__assert_fail.num_vgpr)
	.set Transform_I8_S_101_16_16_VW_1.num_agpr, max(0, .L__assert_fail.num_agpr)
	.set Transform_I8_S_101_16_16_VW_1.numbered_sgpr, max(33, .L__assert_fail.numbered_sgpr)
	.set Transform_I8_S_101_16_16_VW_1.num_named_barrier, max(0, .L__assert_fail.num_named_barrier)
	.set Transform_I8_S_101_16_16_VW_1.private_seg_size, 0+max(.L__assert_fail.private_seg_size)
	.set Transform_I8_S_101_16_16_VW_1.uses_vcc, or(1, .L__assert_fail.uses_vcc)
	.set Transform_I8_S_101_16_16_VW_1.uses_flat_scratch, or(1, .L__assert_fail.uses_flat_scratch)
	.set Transform_I8_S_101_16_16_VW_1.has_dyn_sized_stack, or(0, .L__assert_fail.has_dyn_sized_stack)
	.set Transform_I8_S_101_16_16_VW_1.has_recursion, or(0, .L__assert_fail.has_recursion)
	.set Transform_I8_S_101_16_16_VW_1.has_indirect_call, or(0, .L__assert_fail.has_indirect_call)
	.section	.AMDGPU.csdata,"",@progbits
; Kernel info:
; codeLenInByte = 608
; TotalNumSgprs: 40
; NumVgprs: 42
; ScratchSize: 64
; MemoryBound: 0
; FloatMode: 240
; IeeeMode: 1
; LDSByteSize: 0 bytes/workgroup (compile time only)
; SGPRBlocks: 4
; VGPRBlocks: 10
; NumSGPRsForWavesPerEU: 40
; NumVGPRsForWavesPerEU: 42
; Occupancy: 5
; WaveLimiterHint : 1
; COMPUTE_PGM_RSRC2:SCRATCH_EN: 1
; COMPUTE_PGM_RSRC2:USER_SGPR: 8
; COMPUTE_PGM_RSRC2:TRAP_HANDLER: 0
; COMPUTE_PGM_RSRC2:TGID_X_EN: 1
; COMPUTE_PGM_RSRC2:TGID_Y_EN: 0
; COMPUTE_PGM_RSRC2:TGID_Z_EN: 1
; COMPUTE_PGM_RSRC2:TIDIG_COMP_CNT: 0
	.text
	.protected	Transform_I8_S_101_16_16_VW_4 ; -- Begin function Transform_I8_S_101_16_16_VW_4
	.globl	Transform_I8_S_101_16_16_VW_4
	.p2align	8
	.type	Transform_I8_S_101_16_16_VW_4,@function
Transform_I8_S_101_16_16_VW_4:          ; @Transform_I8_S_101_16_16_VW_4
; %bb.0:
	s_mov_b64 s[26:27], s[4:5]
	s_load_dword s4, s[6:7], 0x64
	s_add_u32 flat_scratch_lo, s8, s12
	s_addc_u32 flat_scratch_hi, s9, 0
	s_add_u32 s0, s0, s12
	s_addc_u32 s1, s1, 0
	s_waitcnt lgkmcnt(0)
	s_and_b32 s4, s4, 0xffff
	s_mov_b32 s35, s11
	s_mov_b32 s34, s10
	s_mov_b64 s[28:29], s[6:7]
	v_mov_b32_e32 v41, v2
	v_mov_b32_e32 v42, v1
	;; [unrolled: 1-line block ×3, first 2 shown]
	s_cmpk_eq_i32 s4, 0x100
	s_mov_b64 s[4:5], -1
	s_mov_b32 s32, 0
	s_cbranch_scc1 .LBB71_2
; %bb.1:
	s_add_u32 s8, s28, 0x58
	s_addc_u32 s9, s29, 0
	s_getpc_b64 s[4:5]
	s_add_u32 s4, s4, __PRETTY_FUNCTION__._ZN10amd_detail9transformIafLb1ELb0ELb1ELj16ELj16ELj4EEEvPT_PKS1_S4_T0_PKS5_S5_S7_jjjjjjbb@rel32@lo+4
	s_addc_u32 s5, s5, __PRETTY_FUNCTION__._ZN10amd_detail9transformIafLb1ELb0ELb1ELj16ELj16ELj4EEEvPT_PKS1_S4_T0_PKS5_S5_S7_jjjjjjbb@rel32@hi+12
	s_getpc_b64 s[6:7]
	s_add_u32 s6, s6, __assert_fail@rel32@lo+4
	s_addc_u32 s7, s7, __assert_fail@rel32@hi+12
	v_mov_b32_e32 v0, s4
	v_mov_b32_e32 v1, s5
	s_swappc_b64 s[30:31], s[6:7]
	s_mov_b64 s[4:5], 0
	; divergent unreachable
.LBB71_2:
	s_andn2_b64 vcc, exec, s[4:5]
	s_cbranch_vccnz .LBB71_54
; %bb.3:
	s_load_dwordx4 s[12:15], s[28:29], 0x38
	s_waitcnt lgkmcnt(0)
	s_lshr_b32 s6, s12, 4
	s_and_b32 s4, s12, 15
	s_cmp_lg_u32 s4, 0
	s_cselect_b64 s[4:5], -1, 0
	s_cmp_lg_u64 s[4:5], 0
	s_addc_u32 s6, s6, 0
	v_cvt_f32_u32_e32 v0, s6
	s_load_dword s8, s[28:29], 0x18
	s_load_dwordx2 s[4:5], s[28:29], 0x20
	s_sub_i32 s7, 0, s6
	v_rcp_iflag_f32_e32 v0, v0
	s_waitcnt lgkmcnt(0)
	v_mov_b32_e32 v11, s8
	v_mul_f32_e32 v0, 0x4f7ffffe, v0
	v_cvt_u32_f32_e32 v0, v0
	v_readfirstlane_b32 s9, v0
	s_mul_i32 s7, s7, s9
	s_mul_hi_u32 s7, s9, s7
	s_add_i32 s9, s9, s7
	s_mul_hi_u32 s7, s34, s9
	s_cmp_eq_u64 s[4:5], 0
	s_cbranch_scc1 .LBB71_5
; %bb.4:
	v_mov_b32_e32 v0, 0
	global_load_dword v11, v0, s[4:5]
.LBB71_5:
	s_load_dwordx2 s[4:5], s[28:29], 0x30
	s_load_dword s8, s[28:29], 0x28
	s_waitcnt lgkmcnt(0)
	s_cmp_eq_u64 s[4:5], 0
	v_mov_b32_e32 v14, s8
	s_cbranch_scc1 .LBB71_7
; %bb.6:
	v_mov_b32_e32 v0, 0
	global_load_dword v14, v0, s[4:5]
.LBB71_7:
	s_mul_i32 s4, s7, s6
	s_sub_i32 s4, s34, s4
	s_add_i32 s5, s7, 1
	s_sub_i32 s8, s4, s6
	s_cmp_ge_u32 s4, s6
	s_cselect_b32 s5, s5, s7
	s_cselect_b32 s4, s8, s4
	s_add_i32 s7, s5, 1
	s_cmp_ge_u32 s4, s6
	s_cselect_b32 s4, s7, s5
	s_mul_i32 s30, s4, s6
	s_sub_i32 s5, s34, s30
	v_and_b32_e32 v8, 15, v43
	v_lshl_or_b32 v0, s5, 4, v8
	v_cmp_gt_u32_e32 vcc, s12, v0
	s_and_saveexec_b64 s[6:7], vcc
	s_cbranch_execz .LBB71_54
; %bb.8:
	v_lshrrev_b32_e32 v1, 2, v43
	s_lshl_b32 s12, s4, 6
	v_and_b32_e32 v10, 0xfc, v1
	s_load_dwordx4 s[20:23], s[28:29], 0x48
	v_add_u32_e32 v9, s12, v10
	v_add_u32_e32 v12, 4, v9
	v_sub_u32_e64 v13, v12, s13 clamp
	s_load_dwordx4 s[16:19], s[28:29], 0x0
	s_load_dwordx2 s[24:25], s[28:29], 0x10
	v_sub_u32_e32 v3, v9, v13
	v_mad_u64_u32 v[4:5], s[4:5], v0, s14, v[3:4]
	s_waitcnt lgkmcnt(0)
	s_bitcmp1_b32 s22, 0
	s_cselect_b64 vcc, -1, 0
	s_cmp_lg_u64 s[18:19], 0
	s_mul_i32 s21, s21, s35
	s_cselect_b64 s[10:11], -1, 0
	s_cmp_eq_u64 s[18:19], 0
	v_mov_b32_e32 v16, 0
	v_mov_b32_e32 v15, 0
	s_cbranch_scc1 .LBB71_10
; %bb.9:
	v_mad_u64_u32 v[1:2], s[4:5], v3, s14, v[0:1]
	v_cndmask_b32_e32 v1, v4, v1, vcc
	v_add_u32_e32 v1, s21, v1
	global_load_sbyte v1, v1, s[18:19]
	s_waitcnt vmcnt(0)
	v_cvt_f32_i32_e32 v15, v1
.LBB71_10:
	s_load_dword s6, s[28:29], 0x50
	s_xor_b64 s[8:9], vcc, -1
	v_mad_u64_u32 v[1:2], s[4:5], v0, s15, v[3:4]
	s_waitcnt lgkmcnt(0)
	s_bitcmp1_b32 s6, 8
	s_cselect_b64 s[6:7], -1, 0
	s_cmp_lg_u64 s[24:25], 0
	s_cselect_b64 s[22:23], -1, 0
	s_cmp_eq_u64 s[24:25], 0
	s_cbranch_scc1 .LBB71_12
; %bb.11:
	v_mad_u64_u32 v[5:6], s[4:5], v3, s15, v[0:1]
	v_cndmask_b32_e64 v2, v5, v1, s[6:7]
	v_add_u32_e32 v2, s21, v2
	global_load_sbyte v2, v2, s[24:25]
	s_waitcnt vmcnt(0)
	v_cvt_f32_i32_e32 v16, v2
.LBB71_12:
	v_cndmask_b32_e64 v2, 0, 1, s[8:9]
	v_cmp_ne_u32_e64 s[4:5], 1, v2
	s_andn2_b64 vcc, exec, s[8:9]
	s_cbranch_vccnz .LBB71_14
; %bb.13:
	v_add_u32_e32 v2, 1, v4
	s_xor_b64 s[8:9], s[6:7], -1
	s_cbranch_execz .LBB71_15
	s_branch .LBB71_16
.LBB71_14:
                                        ; implicit-def: $vgpr2
	s_xor_b64 s[8:9], s[6:7], -1
.LBB71_15:
	v_mul_lo_u32 v2, s14, v3
	v_add3_u32 v2, v2, s14, v0
.LBB71_16:
	v_cndmask_b32_e64 v5, 0, 1, s[8:9]
	v_cmp_ne_u32_e64 s[6:7], 1, v5
	s_andn2_b64 vcc, exec, s[8:9]
	s_cbranch_vccnz .LBB71_18
; %bb.17:
	v_mul_lo_u32 v5, s15, v3
	v_add3_u32 v5, v5, s15, v0
	s_cbranch_execz .LBB71_19
	s_branch .LBB71_20
.LBB71_18:
                                        ; implicit-def: $vgpr5
.LBB71_19:
	v_add_u32_e32 v5, 1, v1
.LBB71_20:
	v_cndmask_b32_e64 v6, 0, 1, s[10:11]
	v_mov_b32_e32 v18, 0
	v_cmp_ne_u32_e64 s[8:9], 1, v6
	s_andn2_b64 vcc, exec, s[10:11]
	v_mov_b32_e32 v17, 0
	s_cbranch_vccnz .LBB71_22
; %bb.21:
	v_add_u32_e32 v2, s21, v2
	global_load_sbyte v2, v2, s[18:19]
	s_waitcnt vmcnt(0)
	v_cvt_f32_i32_e32 v17, v2
.LBB71_22:
	v_cndmask_b32_e64 v2, 0, 1, s[22:23]
	v_cmp_ne_u32_e64 s[10:11], 1, v2
	s_andn2_b64 vcc, exec, s[22:23]
	s_cbranch_vccnz .LBB71_24
; %bb.23:
	v_add_u32_e32 v2, s21, v5
	global_load_sbyte v2, v2, s[24:25]
	s_waitcnt vmcnt(0)
	v_cvt_f32_i32_e32 v18, v2
.LBB71_24:
	s_and_b64 vcc, exec, s[4:5]
	s_cbranch_vccnz .LBB71_26
; %bb.25:
	v_add_u32_e32 v5, 2, v4
	v_add_u32_e32 v2, 2, v3
	s_cbranch_execz .LBB71_27
	s_branch .LBB71_28
.LBB71_26:
                                        ; implicit-def: $vgpr5
	v_add_u32_e32 v2, 2, v3
.LBB71_27:
	v_mad_u64_u32 v[5:6], s[22:23], v2, s14, v[0:1]
.LBB71_28:
	s_and_b64 vcc, exec, s[6:7]
	s_cbranch_vccnz .LBB71_30
; %bb.29:
	v_mad_u64_u32 v[6:7], s[22:23], v2, s15, v[0:1]
	s_cbranch_execz .LBB71_31
	s_branch .LBB71_32
.LBB71_30:
                                        ; implicit-def: $vgpr6
.LBB71_31:
	v_add_u32_e32 v6, 2, v1
.LBB71_32:
	v_mov_b32_e32 v19, 0
	s_and_b64 vcc, exec, s[8:9]
	v_mov_b32_e32 v7, 0
	s_cbranch_vccnz .LBB71_34
; %bb.33:
	v_add_u32_e32 v2, s21, v5
	global_load_sbyte v2, v2, s[18:19]
	s_waitcnt vmcnt(0)
	v_cvt_f32_i32_e32 v7, v2
.LBB71_34:
	s_and_b64 vcc, exec, s[10:11]
	s_cbranch_vccnz .LBB71_36
; %bb.35:
	v_add_u32_e32 v2, s21, v6
	global_load_sbyte v2, v2, s[24:25]
	s_waitcnt vmcnt(0)
	v_cvt_f32_i32_e32 v19, v2
.LBB71_36:
	s_and_b64 vcc, exec, s[4:5]
	s_cbranch_vccnz .LBB71_38
; %bb.37:
	v_add_u32_e32 v2, 3, v4
	v_add_u32_e32 v4, 3, v3
	s_cbranch_execz .LBB71_39
	s_branch .LBB71_40
.LBB71_38:
                                        ; implicit-def: $vgpr2
	v_add_u32_e32 v4, 3, v3
.LBB71_39:
	v_mad_u64_u32 v[2:3], s[4:5], v4, s14, v[0:1]
.LBB71_40:
	s_and_b64 vcc, exec, s[6:7]
	s_cbranch_vccnz .LBB71_42
; %bb.41:
	v_mad_u64_u32 v[3:4], s[4:5], v4, s15, v[0:1]
	s_cbranch_execz .LBB71_43
	s_branch .LBB71_44
.LBB71_42:
                                        ; implicit-def: $vgpr3
.LBB71_43:
	v_add_u32_e32 v3, 3, v1
.LBB71_44:
	v_mov_b32_e32 v5, 0
	s_and_b64 vcc, exec, s[8:9]
	v_mov_b32_e32 v4, 0
	s_cbranch_vccnz .LBB71_46
; %bb.45:
	v_add_u32_e32 v1, s21, v2
	global_load_sbyte v1, v1, s[18:19]
	s_waitcnt vmcnt(0)
	v_cvt_f32_i32_e32 v4, v1
.LBB71_46:
	s_and_b64 vcc, exec, s[10:11]
	s_cbranch_vccnz .LBB71_48
; %bb.47:
	v_add_u32_e32 v1, s21, v3
	global_load_sbyte v1, v1, s[24:25]
	s_waitcnt vmcnt(0)
	v_cvt_f32_i32_e32 v5, v1
.LBB71_48:
	s_load_dwordx2 s[4:5], s[26:27], 0x4
	s_waitcnt vmcnt(0)
	v_mul_f32_e32 v2, v14, v18
	v_mul_f32_e32 v5, v14, v5
	;; [unrolled: 1-line block ×4, first 2 shown]
	s_waitcnt lgkmcnt(0)
	s_lshr_b32 s4, s4, 16
	v_fmac_f32_e32 v2, v11, v17
	v_fmac_f32_e32 v5, v11, v4
	;; [unrolled: 1-line block ×3, first 2 shown]
	s_mul_i32 s4, s4, s5
	v_cvt_i32_f32_e32 v2, v2
	v_fmac_f32_e32 v6, v11, v7
	v_cvt_i32_f32_e32 v4, v5
	v_mul_lo_u32 v15, s4, v43
	v_cvt_i32_f32_e32 v3, v1
	v_cvt_i32_f32_e32 v5, v6
	v_lshlrev_b16_e32 v6, 8, v2
	v_lshlrev_b16_e32 v7, 8, v4
	v_mad_u32_u24 v1, v42, s5, v15
	v_or_b32_sdwa v6, v3, v6 dst_sel:DWORD dst_unused:UNUSED_PAD src0_sel:BYTE_0 src1_sel:DWORD
	v_or_b32_sdwa v7, v5, v7 dst_sel:WORD_1 dst_unused:UNUSED_PAD src0_sel:BYTE_0 src1_sel:DWORD
	v_add_lshl_u32 v1, v1, v41, 2
	v_or_b32_sdwa v6, v6, v7 dst_sel:DWORD dst_unused:UNUSED_PAD src0_sel:WORD_0 src1_sel:DWORD
	v_cmp_ge_u32_e32 vcc, s13, v12
	ds_write_b32 v1, v6
	s_and_saveexec_b64 s[4:5], vcc
	s_xor_b64 s[4:5], exec, s[4:5]
	s_cbranch_execz .LBB71_50
; %bb.49:
	v_mul_lo_u32 v0, v0, s20
                                        ; implicit-def: $vgpr12
                                        ; implicit-def: $vgpr8
                                        ; implicit-def: $vgpr10
	v_add3_u32 v0, v9, s21, v0
	v_sub_u32_e32 v0, v0, v13
	global_store_byte v0, v3, s[16:17]
	v_add_u32_e32 v1, 1, v0
	v_add_u32_e32 v3, 2, v0
	;; [unrolled: 1-line block ×3, first 2 shown]
	global_store_byte v1, v2, s[16:17]
	global_store_byte v3, v5, s[16:17]
	;; [unrolled: 1-line block ×3, first 2 shown]
                                        ; implicit-def: $vgpr13
                                        ; implicit-def: $vgpr1
                                        ; implicit-def: $vgpr9
.LBB71_50:
	s_andn2_saveexec_b64 s[4:5], s[4:5]
	s_cbranch_execz .LBB71_54
; %bb.51:
	v_cmp_gt_u32_e32 vcc, 4, v13
	s_and_b64 exec, exec, vcc
	s_cbranch_execz .LBB71_54
; %bb.52:
	v_lshl_or_b32 v2, s34, 4, v8
	s_lshl_b32 s4, s30, 4
	v_subrev_u32_e32 v2, s4, v2
	v_mul_lo_u32 v2, s20, v2
	v_min_u32_e32 v0, s13, v12
	v_sub_u32_e32 v0, v9, v0
	s_add_i32 s12, s12, s21
	v_add_u32_e32 v0, 3, v0
	v_add3_u32 v2, s12, v2, v10
	s_mov_b64 s[4:5], 0
.LBB71_53:                              ; =>This Inner Loop Header: Depth=1
	v_add_u32_e32 v3, v1, v0
	ds_read_u8 v3, v3 offset:1
	v_add_u32_e32 v0, 1, v0
	v_cmp_lt_u32_e32 vcc, 2, v0
	s_or_b64 s[4:5], vcc, s[4:5]
	s_waitcnt lgkmcnt(0)
	global_store_byte v2, v3, s[16:17]
	v_add_u32_e32 v2, 1, v2
	s_andn2_b64 exec, exec, s[4:5]
	s_cbranch_execnz .LBB71_53
.LBB71_54:
	s_endpgm
	.section	.rodata,"a",@progbits
	.p2align	6, 0x0
	.amdhsa_kernel Transform_I8_S_101_16_16_VW_4
		.amdhsa_group_segment_fixed_size 4096
		.amdhsa_private_segment_fixed_size 64
		.amdhsa_kernarg_size 344
		.amdhsa_user_sgpr_count 10
		.amdhsa_user_sgpr_private_segment_buffer 1
		.amdhsa_user_sgpr_dispatch_ptr 1
		.amdhsa_user_sgpr_queue_ptr 0
		.amdhsa_user_sgpr_kernarg_segment_ptr 1
		.amdhsa_user_sgpr_dispatch_id 0
		.amdhsa_user_sgpr_flat_scratch_init 1
		.amdhsa_user_sgpr_private_segment_size 0
		.amdhsa_uses_dynamic_stack 0
		.amdhsa_system_sgpr_private_segment_wavefront_offset 1
		.amdhsa_system_sgpr_workgroup_id_x 1
		.amdhsa_system_sgpr_workgroup_id_y 0
		.amdhsa_system_sgpr_workgroup_id_z 1
		.amdhsa_system_sgpr_workgroup_info 0
		.amdhsa_system_vgpr_workitem_id 2
		.amdhsa_next_free_vgpr 44
		.amdhsa_next_free_sgpr 36
		.amdhsa_reserve_vcc 1
		.amdhsa_reserve_flat_scratch 1
		.amdhsa_float_round_mode_32 0
		.amdhsa_float_round_mode_16_64 0
		.amdhsa_float_denorm_mode_32 3
		.amdhsa_float_denorm_mode_16_64 3
		.amdhsa_dx10_clamp 1
		.amdhsa_ieee_mode 1
		.amdhsa_fp16_overflow 0
		.amdhsa_exception_fp_ieee_invalid_op 0
		.amdhsa_exception_fp_denorm_src 0
		.amdhsa_exception_fp_ieee_div_zero 0
		.amdhsa_exception_fp_ieee_overflow 0
		.amdhsa_exception_fp_ieee_underflow 0
		.amdhsa_exception_fp_ieee_inexact 0
		.amdhsa_exception_int_div_zero 0
	.end_amdhsa_kernel
	.text
.Lfunc_end71:
	.size	Transform_I8_S_101_16_16_VW_4, .Lfunc_end71-Transform_I8_S_101_16_16_VW_4
                                        ; -- End function
	.set Transform_I8_S_101_16_16_VW_4.num_vgpr, max(44, .L__assert_fail.num_vgpr)
	.set Transform_I8_S_101_16_16_VW_4.num_agpr, max(0, .L__assert_fail.num_agpr)
	.set Transform_I8_S_101_16_16_VW_4.numbered_sgpr, max(36, .L__assert_fail.numbered_sgpr)
	.set Transform_I8_S_101_16_16_VW_4.num_named_barrier, max(0, .L__assert_fail.num_named_barrier)
	.set Transform_I8_S_101_16_16_VW_4.private_seg_size, 0+max(.L__assert_fail.private_seg_size)
	.set Transform_I8_S_101_16_16_VW_4.uses_vcc, or(1, .L__assert_fail.uses_vcc)
	.set Transform_I8_S_101_16_16_VW_4.uses_flat_scratch, or(1, .L__assert_fail.uses_flat_scratch)
	.set Transform_I8_S_101_16_16_VW_4.has_dyn_sized_stack, or(0, .L__assert_fail.has_dyn_sized_stack)
	.set Transform_I8_S_101_16_16_VW_4.has_recursion, or(0, .L__assert_fail.has_recursion)
	.set Transform_I8_S_101_16_16_VW_4.has_indirect_call, or(0, .L__assert_fail.has_indirect_call)
	.section	.AMDGPU.csdata,"",@progbits
; Kernel info:
; codeLenInByte = 1424
; TotalNumSgprs: 42
; NumVgprs: 44
; ScratchSize: 64
; MemoryBound: 0
; FloatMode: 240
; IeeeMode: 1
; LDSByteSize: 4096 bytes/workgroup (compile time only)
; SGPRBlocks: 5
; VGPRBlocks: 10
; NumSGPRsForWavesPerEU: 42
; NumVGPRsForWavesPerEU: 44
; Occupancy: 5
; WaveLimiterHint : 1
; COMPUTE_PGM_RSRC2:SCRATCH_EN: 1
; COMPUTE_PGM_RSRC2:USER_SGPR: 10
; COMPUTE_PGM_RSRC2:TRAP_HANDLER: 0
; COMPUTE_PGM_RSRC2:TGID_X_EN: 1
; COMPUTE_PGM_RSRC2:TGID_Y_EN: 0
; COMPUTE_PGM_RSRC2:TGID_Z_EN: 1
; COMPUTE_PGM_RSRC2:TIDIG_COMP_CNT: 2
	.text
	.protected	Transform_I8_S_100_16_16_VW_1 ; -- Begin function Transform_I8_S_100_16_16_VW_1
	.globl	Transform_I8_S_100_16_16_VW_1
	.p2align	8
	.type	Transform_I8_S_100_16_16_VW_1,@function
Transform_I8_S_100_16_16_VW_1:          ; @Transform_I8_S_100_16_16_VW_1
; %bb.0:
	s_mov_b64 s[26:27], s[4:5]
	s_load_dword s4, s[4:5], 0x64
	s_add_u32 flat_scratch_lo, s6, s10
	s_addc_u32 flat_scratch_hi, s7, 0
	s_add_u32 s0, s0, s10
	s_addc_u32 s1, s1, 0
	s_waitcnt lgkmcnt(0)
	s_and_b32 s4, s4, 0xffff
	s_mov_b32 s28, s9
	s_mov_b32 s29, s8
	v_mov_b32_e32 v41, v0
	s_cmpk_eq_i32 s4, 0x100
	s_mov_b64 s[4:5], -1
	s_mov_b32 s32, 0
	s_cbranch_scc1 .LBB72_2
; %bb.1:
	s_add_u32 s8, s26, 0x58
	s_addc_u32 s9, s27, 0
	s_getpc_b64 s[4:5]
	s_add_u32 s4, s4, __PRETTY_FUNCTION__._ZN10amd_detail9transformIafLb1ELb0ELb0ELj16ELj16ELj1EEEvPT_PKS1_S4_T0_PKS5_S5_S7_jjjjjjbb@rel32@lo+4
	s_addc_u32 s5, s5, __PRETTY_FUNCTION__._ZN10amd_detail9transformIafLb1ELb0ELb0ELj16ELj16ELj1EEEvPT_PKS1_S4_T0_PKS5_S5_S7_jjjjjjbb@rel32@hi+12
	s_getpc_b64 s[6:7]
	s_add_u32 s6, s6, __assert_fail@rel32@lo+4
	s_addc_u32 s7, s7, __assert_fail@rel32@hi+12
	v_mov_b32_e32 v0, s4
	v_mov_b32_e32 v1, s5
	s_swappc_b64 s[30:31], s[6:7]
	s_mov_b64 s[4:5], 0
	; divergent unreachable
.LBB72_2:
	s_andn2_b64 vcc, exec, s[4:5]
	s_cbranch_vccnz .LBB72_13
; %bb.3:
	s_load_dwordx8 s[4:11], s[26:27], 0x38
	s_waitcnt lgkmcnt(0)
	s_lshr_b32 s11, s4, 4
	s_and_b32 s12, s4, 15
	s_cmp_lg_u32 s12, 0
	s_cselect_b64 s[12:13], -1, 0
	s_cmp_lg_u64 s[12:13], 0
	s_addc_u32 s11, s11, 0
	v_cvt_f32_u32_e32 v0, s11
	s_load_dword s15, s[26:27], 0x18
	s_load_dwordx2 s[12:13], s[26:27], 0x20
	s_sub_i32 s14, 0, s11
	v_rcp_iflag_f32_e32 v0, v0
	v_mul_f32_e32 v0, 0x4f7ffffe, v0
	v_cvt_u32_f32_e32 v0, v0
	v_readfirstlane_b32 s16, v0
	s_mul_i32 s14, s14, s16
	s_mul_hi_u32 s14, s16, s14
	s_add_i32 s16, s16, s14
	s_mul_hi_u32 s14, s29, s16
	s_waitcnt lgkmcnt(0)
	s_cmp_eq_u64 s[12:13], 0
	v_mov_b32_e32 v0, s15
	s_cbranch_scc1 .LBB72_5
; %bb.4:
	v_mov_b32_e32 v0, 0
	global_load_dword v0, v0, s[12:13]
.LBB72_5:
	s_load_dwordx2 s[12:13], s[26:27], 0x30
	s_load_dword s15, s[26:27], 0x28
	s_waitcnt lgkmcnt(0)
	s_cmp_eq_u64 s[12:13], 0
	v_mov_b32_e32 v1, s15
	s_cbranch_scc1 .LBB72_7
; %bb.6:
	v_mov_b32_e32 v1, 0
	global_load_dword v1, v1, s[12:13]
.LBB72_7:
	s_mul_i32 s12, s14, s11
	s_sub_i32 s12, s29, s12
	s_add_i32 s13, s14, 1
	s_sub_i32 s15, s12, s11
	s_cmp_ge_u32 s12, s11
	s_cselect_b32 s13, s13, s14
	s_cselect_b32 s12, s15, s12
	s_add_i32 s14, s13, 1
	s_cmp_ge_u32 s12, s11
	s_cselect_b32 s12, s14, s13
	s_mul_i32 s11, s12, s11
	s_sub_i32 s11, s29, s11
	v_and_b32_e32 v2, 15, v41
	v_lshrrev_b32_e32 v3, 4, v41
	v_lshl_or_b32 v2, s11, 4, v2
	v_lshl_add_u32 v3, s12, 4, v3
	v_cmp_gt_u32_e32 vcc, s4, v2
	v_cmp_gt_u32_e64 s[4:5], s5, v3
	s_and_b64 s[4:5], vcc, s[4:5]
	s_and_saveexec_b64 s[12:13], s[4:5]
	s_cbranch_execz .LBB72_13
; %bb.8:
	s_load_dwordx4 s[12:15], s[26:27], 0x0
	s_load_dwordx2 s[4:5], s[26:27], 0x10
	s_mul_i32 s9, s9, s28
	v_mov_b32_e32 v5, 0
	v_mov_b32_e32 v4, 0
	s_waitcnt lgkmcnt(0)
	s_cmp_eq_u64 s[14:15], 0
	s_cbranch_scc1 .LBB72_10
; %bb.9:
	s_bitcmp1_b32 s10, 0
	s_cselect_b64 vcc, -1, 0
	v_cndmask_b32_e32 v4, v2, v3, vcc
	v_mul_lo_u32 v4, v4, s6
	v_cndmask_b32_e32 v6, v3, v2, vcc
	v_add3_u32 v4, v6, s9, v4
	global_load_sbyte v4, v4, s[14:15]
	s_waitcnt vmcnt(0)
	v_cvt_f32_i32_e32 v4, v4
.LBB72_10:
	s_cmp_eq_u64 s[4:5], 0
	s_cbranch_scc1 .LBB72_12
; %bb.11:
	s_load_dword s6, s[26:27], 0x50
	s_waitcnt lgkmcnt(0)
	s_bitcmp1_b32 s6, 8
	s_cselect_b64 vcc, -1, 0
	v_cndmask_b32_e32 v5, v3, v2, vcc
	v_mul_lo_u32 v5, v5, s7
	v_cndmask_b32_e32 v6, v2, v3, vcc
	v_add3_u32 v5, v6, s9, v5
	global_load_sbyte v5, v5, s[4:5]
	s_waitcnt vmcnt(0)
	v_cvt_f32_i32_e32 v5, v5
.LBB72_12:
	s_waitcnt vmcnt(0)
	v_mul_f32_e32 v1, v1, v5
	v_fmac_f32_e32 v1, v0, v4
	v_mul_lo_u32 v0, v3, s8
	v_cvt_i32_f32_e32 v1, v1
	v_add3_u32 v0, v2, s9, v0
	global_store_byte v0, v1, s[12:13]
.LBB72_13:
	s_endpgm
	.section	.rodata,"a",@progbits
	.p2align	6, 0x0
	.amdhsa_kernel Transform_I8_S_100_16_16_VW_1
		.amdhsa_group_segment_fixed_size 0
		.amdhsa_private_segment_fixed_size 64
		.amdhsa_kernarg_size 344
		.amdhsa_user_sgpr_count 8
		.amdhsa_user_sgpr_private_segment_buffer 1
		.amdhsa_user_sgpr_dispatch_ptr 0
		.amdhsa_user_sgpr_queue_ptr 0
		.amdhsa_user_sgpr_kernarg_segment_ptr 1
		.amdhsa_user_sgpr_dispatch_id 0
		.amdhsa_user_sgpr_flat_scratch_init 1
		.amdhsa_user_sgpr_private_segment_size 0
		.amdhsa_uses_dynamic_stack 0
		.amdhsa_system_sgpr_private_segment_wavefront_offset 1
		.amdhsa_system_sgpr_workgroup_id_x 1
		.amdhsa_system_sgpr_workgroup_id_y 0
		.amdhsa_system_sgpr_workgroup_id_z 1
		.amdhsa_system_sgpr_workgroup_info 0
		.amdhsa_system_vgpr_workitem_id 0
		.amdhsa_next_free_vgpr 42
		.amdhsa_next_free_sgpr 34
		.amdhsa_reserve_vcc 1
		.amdhsa_reserve_flat_scratch 1
		.amdhsa_float_round_mode_32 0
		.amdhsa_float_round_mode_16_64 0
		.amdhsa_float_denorm_mode_32 3
		.amdhsa_float_denorm_mode_16_64 3
		.amdhsa_dx10_clamp 1
		.amdhsa_ieee_mode 1
		.amdhsa_fp16_overflow 0
		.amdhsa_exception_fp_ieee_invalid_op 0
		.amdhsa_exception_fp_denorm_src 0
		.amdhsa_exception_fp_ieee_div_zero 0
		.amdhsa_exception_fp_ieee_overflow 0
		.amdhsa_exception_fp_ieee_underflow 0
		.amdhsa_exception_fp_ieee_inexact 0
		.amdhsa_exception_int_div_zero 0
	.end_amdhsa_kernel
	.text
.Lfunc_end72:
	.size	Transform_I8_S_100_16_16_VW_1, .Lfunc_end72-Transform_I8_S_100_16_16_VW_1
                                        ; -- End function
	.set Transform_I8_S_100_16_16_VW_1.num_vgpr, max(42, .L__assert_fail.num_vgpr)
	.set Transform_I8_S_100_16_16_VW_1.num_agpr, max(0, .L__assert_fail.num_agpr)
	.set Transform_I8_S_100_16_16_VW_1.numbered_sgpr, max(33, .L__assert_fail.numbered_sgpr)
	.set Transform_I8_S_100_16_16_VW_1.num_named_barrier, max(0, .L__assert_fail.num_named_barrier)
	.set Transform_I8_S_100_16_16_VW_1.private_seg_size, 0+max(.L__assert_fail.private_seg_size)
	.set Transform_I8_S_100_16_16_VW_1.uses_vcc, or(1, .L__assert_fail.uses_vcc)
	.set Transform_I8_S_100_16_16_VW_1.uses_flat_scratch, or(1, .L__assert_fail.uses_flat_scratch)
	.set Transform_I8_S_100_16_16_VW_1.has_dyn_sized_stack, or(0, .L__assert_fail.has_dyn_sized_stack)
	.set Transform_I8_S_100_16_16_VW_1.has_recursion, or(0, .L__assert_fail.has_recursion)
	.set Transform_I8_S_100_16_16_VW_1.has_indirect_call, or(0, .L__assert_fail.has_indirect_call)
	.section	.AMDGPU.csdata,"",@progbits
; Kernel info:
; codeLenInByte = 608
; TotalNumSgprs: 40
; NumVgprs: 42
; ScratchSize: 64
; MemoryBound: 0
; FloatMode: 240
; IeeeMode: 1
; LDSByteSize: 0 bytes/workgroup (compile time only)
; SGPRBlocks: 4
; VGPRBlocks: 10
; NumSGPRsForWavesPerEU: 40
; NumVGPRsForWavesPerEU: 42
; Occupancy: 5
; WaveLimiterHint : 1
; COMPUTE_PGM_RSRC2:SCRATCH_EN: 1
; COMPUTE_PGM_RSRC2:USER_SGPR: 8
; COMPUTE_PGM_RSRC2:TRAP_HANDLER: 0
; COMPUTE_PGM_RSRC2:TGID_X_EN: 1
; COMPUTE_PGM_RSRC2:TGID_Y_EN: 0
; COMPUTE_PGM_RSRC2:TGID_Z_EN: 1
; COMPUTE_PGM_RSRC2:TIDIG_COMP_CNT: 0
	.text
	.protected	Transform_I8_S_100_16_16_VW_4 ; -- Begin function Transform_I8_S_100_16_16_VW_4
	.globl	Transform_I8_S_100_16_16_VW_4
	.p2align	8
	.type	Transform_I8_S_100_16_16_VW_4,@function
Transform_I8_S_100_16_16_VW_4:          ; @Transform_I8_S_100_16_16_VW_4
; %bb.0:
	s_mov_b64 s[26:27], s[4:5]
	s_load_dword s4, s[6:7], 0x64
	s_add_u32 flat_scratch_lo, s8, s12
	s_addc_u32 flat_scratch_hi, s9, 0
	s_add_u32 s0, s0, s12
	s_addc_u32 s1, s1, 0
	s_waitcnt lgkmcnt(0)
	s_and_b32 s4, s4, 0xffff
	s_mov_b32 s35, s11
	s_mov_b32 s34, s10
	s_mov_b64 s[28:29], s[6:7]
	v_mov_b32_e32 v41, v2
	v_mov_b32_e32 v42, v1
	;; [unrolled: 1-line block ×3, first 2 shown]
	s_cmpk_eq_i32 s4, 0x100
	s_mov_b64 s[4:5], -1
	s_mov_b32 s32, 0
	s_cbranch_scc1 .LBB73_2
; %bb.1:
	s_add_u32 s8, s28, 0x58
	s_addc_u32 s9, s29, 0
	s_getpc_b64 s[4:5]
	s_add_u32 s4, s4, __PRETTY_FUNCTION__._ZN10amd_detail9transformIafLb1ELb0ELb0ELj16ELj16ELj4EEEvPT_PKS1_S4_T0_PKS5_S5_S7_jjjjjjbb@rel32@lo+4
	s_addc_u32 s5, s5, __PRETTY_FUNCTION__._ZN10amd_detail9transformIafLb1ELb0ELb0ELj16ELj16ELj4EEEvPT_PKS1_S4_T0_PKS5_S5_S7_jjjjjjbb@rel32@hi+12
	s_getpc_b64 s[6:7]
	s_add_u32 s6, s6, __assert_fail@rel32@lo+4
	s_addc_u32 s7, s7, __assert_fail@rel32@hi+12
	v_mov_b32_e32 v0, s4
	v_mov_b32_e32 v1, s5
	s_swappc_b64 s[30:31], s[6:7]
	s_mov_b64 s[4:5], 0
	; divergent unreachable
.LBB73_2:
	s_andn2_b64 vcc, exec, s[4:5]
	s_cbranch_vccnz .LBB73_54
; %bb.3:
	s_load_dwordx8 s[12:19], s[28:29], 0x38
	s_waitcnt lgkmcnt(0)
	s_lshr_b32 s6, s12, 6
	s_and_b32 s4, s12, 63
	s_cmp_lg_u32 s4, 0
	s_cselect_b64 s[4:5], -1, 0
	s_cmp_lg_u64 s[4:5], 0
	s_addc_u32 s6, s6, 0
	v_cvt_f32_u32_e32 v0, s6
	s_load_dword s8, s[28:29], 0x18
	s_load_dwordx2 s[4:5], s[28:29], 0x20
	s_sub_i32 s7, 0, s6
	v_rcp_iflag_f32_e32 v0, v0
	s_waitcnt lgkmcnt(0)
	v_mov_b32_e32 v7, s8
	v_mul_f32_e32 v0, 0x4f7ffffe, v0
	v_cvt_u32_f32_e32 v0, v0
	v_readfirstlane_b32 s9, v0
	s_mul_i32 s7, s7, s9
	s_mul_hi_u32 s7, s9, s7
	s_add_i32 s9, s9, s7
	s_mul_hi_u32 s7, s34, s9
	s_cmp_eq_u64 s[4:5], 0
	s_cbranch_scc1 .LBB73_5
; %bb.4:
	v_mov_b32_e32 v0, 0
	global_load_dword v7, v0, s[4:5]
.LBB73_5:
	s_load_dwordx2 s[4:5], s[28:29], 0x30
	s_load_dword s8, s[28:29], 0x28
	s_waitcnt lgkmcnt(0)
	s_cmp_eq_u64 s[4:5], 0
	v_mov_b32_e32 v10, s8
	s_cbranch_scc1 .LBB73_7
; %bb.6:
	v_mov_b32_e32 v0, 0
	global_load_dword v10, v0, s[4:5]
.LBB73_7:
	s_mul_i32 s4, s7, s6
	s_sub_i32 s4, s34, s4
	s_add_i32 s5, s7, 1
	s_sub_i32 s8, s4, s6
	s_cmp_ge_u32 s4, s6
	s_cselect_b32 s5, s5, s7
	s_cselect_b32 s4, s8, s4
	s_add_i32 s7, s5, 1
	s_cmp_ge_u32 s4, s6
	s_cselect_b32 s30, s7, s5
	v_lshrrev_b32_e32 v0, 4, v43
	v_lshl_add_u32 v0, s30, 4, v0
	v_cmp_gt_u32_e32 vcc, s13, v0
	s_and_saveexec_b64 s[4:5], vcc
	s_cbranch_execz .LBB73_54
; %bb.8:
	s_mul_i32 s30, s30, s6
	v_lshlrev_b32_e32 v1, 2, v43
	s_sub_i32 s4, s34, s30
	v_and_b32_e32 v8, 60, v1
	v_lshl_or_b32 v11, s4, 6, v8
	v_add_u32_e32 v12, 4, v11
	s_load_dwordx4 s[20:23], s[28:29], 0x0
	s_load_dwordx2 s[24:25], s[28:29], 0x10
	v_sub_u32_e64 v9, v12, s12 clamp
	v_sub_u32_e32 v3, v11, v9
	v_mad_u64_u32 v[1:2], s[4:5], v0, s14, v[3:4]
	s_bitcmp1_b32 s18, 0
	s_cselect_b64 vcc, -1, 0
	s_waitcnt lgkmcnt(0)
	s_cmp_lg_u64 s[22:23], 0
	s_mul_i32 s13, s17, s35
	s_cselect_b64 s[10:11], -1, 0
	s_cmp_eq_u64 s[22:23], 0
	v_mov_b32_e32 v14, 0
	v_mov_b32_e32 v13, 0
	s_cbranch_scc1 .LBB73_10
; %bb.9:
	v_mad_u64_u32 v[4:5], s[4:5], v3, s14, v[0:1]
	v_cndmask_b32_e32 v2, v4, v1, vcc
	v_add_u32_e32 v2, s13, v2
	global_load_sbyte v2, v2, s[22:23]
	s_waitcnt vmcnt(0)
	v_cvt_f32_i32_e32 v13, v2
.LBB73_10:
	s_load_dword s6, s[28:29], 0x50
	s_xor_b64 s[8:9], vcc, -1
	v_mad_u64_u32 v[4:5], s[4:5], v0, s15, v[3:4]
	v_mul_lo_u32 v15, v3, s15
	s_waitcnt lgkmcnt(0)
	s_bitcmp1_b32 s6, 8
	s_cselect_b64 s[6:7], -1, 0
	s_cmp_lg_u64 s[24:25], 0
	s_cselect_b64 s[18:19], -1, 0
	s_cmp_eq_u64 s[24:25], 0
	s_cbranch_scc1 .LBB73_12
; %bb.11:
	v_add_u32_e32 v2, v15, v0
	v_cndmask_b32_e64 v2, v4, v2, s[6:7]
	v_add_u32_e32 v2, s13, v2
	global_load_sbyte v2, v2, s[24:25]
	s_waitcnt vmcnt(0)
	v_cvt_f32_i32_e32 v14, v2
.LBB73_12:
	v_cndmask_b32_e64 v2, 0, 1, s[8:9]
	v_cmp_ne_u32_e64 s[4:5], 1, v2
	s_andn2_b64 vcc, exec, s[8:9]
	s_cbranch_vccnz .LBB73_14
; %bb.13:
	v_mul_lo_u32 v2, s14, v3
	v_add3_u32 v2, v2, s14, v0
	s_xor_b64 s[8:9], s[6:7], -1
	s_cbranch_execz .LBB73_15
	s_branch .LBB73_16
.LBB73_14:
                                        ; implicit-def: $vgpr2
	s_xor_b64 s[8:9], s[6:7], -1
.LBB73_15:
	v_add_u32_e32 v2, 1, v1
.LBB73_16:
	v_cndmask_b32_e64 v5, 0, 1, s[8:9]
	v_cmp_ne_u32_e64 s[6:7], 1, v5
	s_andn2_b64 vcc, exec, s[8:9]
	s_cbranch_vccnz .LBB73_18
; %bb.17:
	v_add_u32_e32 v5, 1, v4
	s_cbranch_execz .LBB73_19
	s_branch .LBB73_20
.LBB73_18:
                                        ; implicit-def: $vgpr5
.LBB73_19:
	v_add3_u32 v5, v15, s15, v0
.LBB73_20:
	v_cndmask_b32_e64 v6, 0, 1, s[10:11]
	v_mov_b32_e32 v17, 0
	v_cmp_ne_u32_e64 s[8:9], 1, v6
	s_andn2_b64 vcc, exec, s[10:11]
	v_mov_b32_e32 v16, 0
	s_cbranch_vccnz .LBB73_22
; %bb.21:
	v_add_u32_e32 v2, s13, v2
	global_load_sbyte v2, v2, s[22:23]
	s_waitcnt vmcnt(0)
	v_cvt_f32_i32_e32 v16, v2
.LBB73_22:
	v_cndmask_b32_e64 v2, 0, 1, s[18:19]
	v_cmp_ne_u32_e64 s[10:11], 1, v2
	s_andn2_b64 vcc, exec, s[18:19]
	s_cbranch_vccnz .LBB73_24
; %bb.23:
	v_add_u32_e32 v2, s13, v5
	global_load_sbyte v2, v2, s[24:25]
	s_waitcnt vmcnt(0)
	v_cvt_f32_i32_e32 v17, v2
.LBB73_24:
	s_and_b64 vcc, exec, s[4:5]
	s_cbranch_vccnz .LBB73_26
; %bb.25:
	v_add_u32_e32 v2, 2, v3
	v_mad_u64_u32 v[5:6], s[18:19], v2, s14, v[0:1]
	s_cbranch_execz .LBB73_27
	s_branch .LBB73_28
.LBB73_26:
                                        ; implicit-def: $vgpr5
.LBB73_27:
	v_add_u32_e32 v5, 2, v1
.LBB73_28:
	s_and_b64 vcc, exec, s[6:7]
	s_cbranch_vccnz .LBB73_30
; %bb.29:
	v_add_u32_e32 v2, 2, v4
	s_cbranch_execz .LBB73_31
	s_branch .LBB73_32
.LBB73_30:
                                        ; implicit-def: $vgpr2
.LBB73_31:
	s_lshl_b32 s17, s15, 1
	v_add3_u32 v2, v15, s17, v0
.LBB73_32:
	v_mov_b32_e32 v18, 0
	s_and_b64 vcc, exec, s[8:9]
	v_mov_b32_e32 v6, 0
	s_cbranch_vccnz .LBB73_34
; %bb.33:
	v_add_u32_e32 v5, s13, v5
	global_load_sbyte v5, v5, s[22:23]
	s_waitcnt vmcnt(0)
	v_cvt_f32_i32_e32 v6, v5
.LBB73_34:
	s_and_b64 vcc, exec, s[10:11]
	s_cbranch_vccnz .LBB73_36
; %bb.35:
	v_add_u32_e32 v2, s13, v2
	global_load_sbyte v2, v2, s[24:25]
	s_waitcnt vmcnt(0)
	v_cvt_f32_i32_e32 v18, v2
.LBB73_36:
	s_and_b64 vcc, exec, s[4:5]
	s_cbranch_vccnz .LBB73_38
; %bb.37:
	v_add_u32_e32 v2, 3, v3
	v_mad_u64_u32 v[2:3], s[4:5], v2, s14, v[0:1]
	s_cbranch_execz .LBB73_39
	s_branch .LBB73_40
.LBB73_38:
                                        ; implicit-def: $vgpr2
.LBB73_39:
	v_add_u32_e32 v2, 3, v1
.LBB73_40:
	s_and_b64 vcc, exec, s[6:7]
	s_cbranch_vccnz .LBB73_42
; %bb.41:
	v_add_u32_e32 v1, 3, v4
	s_cbranch_execz .LBB73_43
	s_branch .LBB73_44
.LBB73_42:
                                        ; implicit-def: $vgpr1
.LBB73_43:
	s_mul_i32 s4, s15, 3
	v_add3_u32 v1, v15, s4, v0
.LBB73_44:
	v_mov_b32_e32 v4, 0
	s_and_b64 vcc, exec, s[8:9]
	v_mov_b32_e32 v3, 0
	s_cbranch_vccnz .LBB73_46
; %bb.45:
	v_add_u32_e32 v2, s13, v2
	global_load_sbyte v2, v2, s[22:23]
	s_waitcnt vmcnt(0)
	v_cvt_f32_i32_e32 v3, v2
.LBB73_46:
	s_and_b64 vcc, exec, s[10:11]
	s_cbranch_vccnz .LBB73_48
; %bb.47:
	v_add_u32_e32 v1, s13, v1
	global_load_sbyte v1, v1, s[24:25]
	s_waitcnt vmcnt(0)
	v_cvt_f32_i32_e32 v4, v1
.LBB73_48:
	s_load_dwordx2 s[4:5], s[26:27], 0x4
	s_waitcnt vmcnt(0)
	v_mul_f32_e32 v2, v10, v17
	v_mul_f32_e32 v4, v10, v4
	;; [unrolled: 1-line block ×4, first 2 shown]
	s_waitcnt lgkmcnt(0)
	s_lshr_b32 s4, s4, 16
	v_fmac_f32_e32 v2, v7, v16
	v_fmac_f32_e32 v4, v7, v3
	;; [unrolled: 1-line block ×3, first 2 shown]
	s_mul_i32 s4, s4, s5
	v_cvt_i32_f32_e32 v2, v2
	v_fmac_f32_e32 v14, v7, v6
	v_cvt_i32_f32_e32 v3, v4
	v_mul_lo_u32 v13, s4, v43
	v_cvt_i32_f32_e32 v5, v1
	v_cvt_i32_f32_e32 v4, v14
	v_mul_lo_u32 v0, v0, s16
	v_lshlrev_b16_e32 v6, 8, v2
	v_lshlrev_b16_e32 v7, 8, v3
	v_mad_u32_u24 v1, v42, s5, v13
	v_or_b32_sdwa v6, v5, v6 dst_sel:DWORD dst_unused:UNUSED_PAD src0_sel:BYTE_0 src1_sel:DWORD
	v_or_b32_sdwa v7, v4, v7 dst_sel:WORD_1 dst_unused:UNUSED_PAD src0_sel:BYTE_0 src1_sel:DWORD
	v_add_lshl_u32 v1, v1, v41, 2
	v_or_b32_sdwa v6, v6, v7 dst_sel:DWORD dst_unused:UNUSED_PAD src0_sel:WORD_0 src1_sel:DWORD
	v_cmp_ge_u32_e32 vcc, s12, v12
	ds_write_b32 v1, v6
	s_and_saveexec_b64 s[4:5], vcc
	s_xor_b64 s[4:5], exec, s[4:5]
	s_cbranch_execz .LBB73_50
; %bb.49:
	v_add_u32_e32 v1, s13, v11
	v_sub_u32_e32 v1, v1, v9
	v_add_u32_e32 v0, v1, v0
	v_add_u32_e32 v1, 1, v0
	global_store_byte v0, v5, s[20:21]
	global_store_byte v1, v2, s[20:21]
	v_add_u32_e32 v1, 2, v0
	v_add_u32_e32 v0, 3, v0
	global_store_byte v1, v4, s[20:21]
	global_store_byte v0, v3, s[20:21]
                                        ; implicit-def: $vgpr9
                                        ; implicit-def: $vgpr1
                                        ; implicit-def: $vgpr8
                                        ; implicit-def: $vgpr0
.LBB73_50:
	s_andn2_saveexec_b64 s[4:5], s[4:5]
	s_cbranch_execz .LBB73_54
; %bb.51:
	v_cmp_gt_u32_e32 vcc, 4, v9
	s_and_b64 exec, exec, vcc
	s_cbranch_execz .LBB73_54
; %bb.52:
	v_lshl_or_b32 v3, s34, 6, v8
	s_lshl_b32 s4, s30, 6
	v_subrev_u32_e32 v2, s4, v3
	v_add_u32_e32 v4, 4, v2
	v_min_u32_e32 v4, s12, v4
	v_sub_u32_e32 v2, v2, v4
	v_add3_u32 v0, s13, v0, v3
	v_add_u32_e32 v2, 3, v2
	v_subrev_u32_e32 v0, s4, v0
	s_mov_b64 s[4:5], 0
.LBB73_53:                              ; =>This Inner Loop Header: Depth=1
	v_add_u32_e32 v3, v1, v2
	ds_read_u8 v3, v3 offset:1
	v_add_u32_e32 v2, 1, v2
	v_cmp_lt_u32_e32 vcc, 2, v2
	s_or_b64 s[4:5], vcc, s[4:5]
	s_waitcnt lgkmcnt(0)
	global_store_byte v0, v3, s[20:21]
	v_add_u32_e32 v0, 1, v0
	s_andn2_b64 exec, exec, s[4:5]
	s_cbranch_execnz .LBB73_53
.LBB73_54:
	s_endpgm
	.section	.rodata,"a",@progbits
	.p2align	6, 0x0
	.amdhsa_kernel Transform_I8_S_100_16_16_VW_4
		.amdhsa_group_segment_fixed_size 4096
		.amdhsa_private_segment_fixed_size 64
		.amdhsa_kernarg_size 344
		.amdhsa_user_sgpr_count 10
		.amdhsa_user_sgpr_private_segment_buffer 1
		.amdhsa_user_sgpr_dispatch_ptr 1
		.amdhsa_user_sgpr_queue_ptr 0
		.amdhsa_user_sgpr_kernarg_segment_ptr 1
		.amdhsa_user_sgpr_dispatch_id 0
		.amdhsa_user_sgpr_flat_scratch_init 1
		.amdhsa_user_sgpr_private_segment_size 0
		.amdhsa_uses_dynamic_stack 0
		.amdhsa_system_sgpr_private_segment_wavefront_offset 1
		.amdhsa_system_sgpr_workgroup_id_x 1
		.amdhsa_system_sgpr_workgroup_id_y 0
		.amdhsa_system_sgpr_workgroup_id_z 1
		.amdhsa_system_sgpr_workgroup_info 0
		.amdhsa_system_vgpr_workitem_id 2
		.amdhsa_next_free_vgpr 44
		.amdhsa_next_free_sgpr 36
		.amdhsa_reserve_vcc 1
		.amdhsa_reserve_flat_scratch 1
		.amdhsa_float_round_mode_32 0
		.amdhsa_float_round_mode_16_64 0
		.amdhsa_float_denorm_mode_32 3
		.amdhsa_float_denorm_mode_16_64 3
		.amdhsa_dx10_clamp 1
		.amdhsa_ieee_mode 1
		.amdhsa_fp16_overflow 0
		.amdhsa_exception_fp_ieee_invalid_op 0
		.amdhsa_exception_fp_denorm_src 0
		.amdhsa_exception_fp_ieee_div_zero 0
		.amdhsa_exception_fp_ieee_overflow 0
		.amdhsa_exception_fp_ieee_underflow 0
		.amdhsa_exception_fp_ieee_inexact 0
		.amdhsa_exception_int_div_zero 0
	.end_amdhsa_kernel
	.text
.Lfunc_end73:
	.size	Transform_I8_S_100_16_16_VW_4, .Lfunc_end73-Transform_I8_S_100_16_16_VW_4
                                        ; -- End function
	.set Transform_I8_S_100_16_16_VW_4.num_vgpr, max(44, .L__assert_fail.num_vgpr)
	.set Transform_I8_S_100_16_16_VW_4.num_agpr, max(0, .L__assert_fail.num_agpr)
	.set Transform_I8_S_100_16_16_VW_4.numbered_sgpr, max(36, .L__assert_fail.numbered_sgpr)
	.set Transform_I8_S_100_16_16_VW_4.num_named_barrier, max(0, .L__assert_fail.num_named_barrier)
	.set Transform_I8_S_100_16_16_VW_4.private_seg_size, 0+max(.L__assert_fail.private_seg_size)
	.set Transform_I8_S_100_16_16_VW_4.uses_vcc, or(1, .L__assert_fail.uses_vcc)
	.set Transform_I8_S_100_16_16_VW_4.uses_flat_scratch, or(1, .L__assert_fail.uses_flat_scratch)
	.set Transform_I8_S_100_16_16_VW_4.has_dyn_sized_stack, or(0, .L__assert_fail.has_dyn_sized_stack)
	.set Transform_I8_S_100_16_16_VW_4.has_recursion, or(0, .L__assert_fail.has_recursion)
	.set Transform_I8_S_100_16_16_VW_4.has_indirect_call, or(0, .L__assert_fail.has_indirect_call)
	.section	.AMDGPU.csdata,"",@progbits
; Kernel info:
; codeLenInByte = 1404
; TotalNumSgprs: 42
; NumVgprs: 44
; ScratchSize: 64
; MemoryBound: 0
; FloatMode: 240
; IeeeMode: 1
; LDSByteSize: 4096 bytes/workgroup (compile time only)
; SGPRBlocks: 5
; VGPRBlocks: 10
; NumSGPRsForWavesPerEU: 42
; NumVGPRsForWavesPerEU: 44
; Occupancy: 5
; WaveLimiterHint : 1
; COMPUTE_PGM_RSRC2:SCRATCH_EN: 1
; COMPUTE_PGM_RSRC2:USER_SGPR: 10
; COMPUTE_PGM_RSRC2:TRAP_HANDLER: 0
; COMPUTE_PGM_RSRC2:TGID_X_EN: 1
; COMPUTE_PGM_RSRC2:TGID_Y_EN: 0
; COMPUTE_PGM_RSRC2:TGID_Z_EN: 1
; COMPUTE_PGM_RSRC2:TIDIG_COMP_CNT: 2
	.text
	.protected	Transform_I8_S_011_16_16_VW_1 ; -- Begin function Transform_I8_S_011_16_16_VW_1
	.globl	Transform_I8_S_011_16_16_VW_1
	.p2align	8
	.type	Transform_I8_S_011_16_16_VW_1,@function
Transform_I8_S_011_16_16_VW_1:          ; @Transform_I8_S_011_16_16_VW_1
; %bb.0:
	s_mov_b64 s[26:27], s[4:5]
	s_load_dword s4, s[4:5], 0x64
	s_add_u32 flat_scratch_lo, s6, s10
	s_addc_u32 flat_scratch_hi, s7, 0
	s_add_u32 s0, s0, s10
	s_addc_u32 s1, s1, 0
	s_waitcnt lgkmcnt(0)
	s_and_b32 s4, s4, 0xffff
	s_mov_b32 s28, s9
	s_mov_b32 s29, s8
	v_mov_b32_e32 v41, v0
	s_cmpk_eq_i32 s4, 0x100
	s_mov_b64 s[4:5], -1
	s_mov_b32 s32, 0
	s_cbranch_scc1 .LBB74_2
; %bb.1:
	s_add_u32 s8, s26, 0x58
	s_addc_u32 s9, s27, 0
	s_getpc_b64 s[4:5]
	s_add_u32 s4, s4, __PRETTY_FUNCTION__._ZN10amd_detail9transformIafLb0ELb1ELb1ELj16ELj16ELj1EEEvPT_PKS1_S4_T0_PKS5_S5_S7_jjjjjjbb@rel32@lo+4
	s_addc_u32 s5, s5, __PRETTY_FUNCTION__._ZN10amd_detail9transformIafLb0ELb1ELb1ELj16ELj16ELj1EEEvPT_PKS1_S4_T0_PKS5_S5_S7_jjjjjjbb@rel32@hi+12
	s_getpc_b64 s[6:7]
	s_add_u32 s6, s6, __assert_fail@rel32@lo+4
	s_addc_u32 s7, s7, __assert_fail@rel32@hi+12
	v_mov_b32_e32 v0, s4
	v_mov_b32_e32 v1, s5
	s_swappc_b64 s[30:31], s[6:7]
	s_mov_b64 s[4:5], 0
	; divergent unreachable
.LBB74_2:
	s_andn2_b64 vcc, exec, s[4:5]
	s_cbranch_vccnz .LBB74_13
; %bb.3:
	s_load_dwordx8 s[4:11], s[26:27], 0x38
	s_waitcnt lgkmcnt(0)
	s_lshr_b32 s11, s4, 4
	s_and_b32 s12, s4, 15
	s_cmp_lg_u32 s12, 0
	s_cselect_b64 s[12:13], -1, 0
	s_cmp_lg_u64 s[12:13], 0
	s_addc_u32 s11, s11, 0
	v_cvt_f32_u32_e32 v0, s11
	s_load_dword s15, s[26:27], 0x18
	s_load_dwordx2 s[12:13], s[26:27], 0x20
	s_sub_i32 s14, 0, s11
	v_rcp_iflag_f32_e32 v0, v0
	v_mul_f32_e32 v0, 0x4f7ffffe, v0
	v_cvt_u32_f32_e32 v0, v0
	v_readfirstlane_b32 s16, v0
	s_mul_i32 s14, s14, s16
	s_mul_hi_u32 s14, s16, s14
	s_add_i32 s16, s16, s14
	s_mul_hi_u32 s14, s29, s16
	s_waitcnt lgkmcnt(0)
	s_cmp_eq_u64 s[12:13], 0
	v_mov_b32_e32 v0, s15
	s_cbranch_scc1 .LBB74_5
; %bb.4:
	v_mov_b32_e32 v0, 0
	global_load_dword v0, v0, s[12:13]
.LBB74_5:
	s_load_dwordx2 s[12:13], s[26:27], 0x30
	s_load_dword s15, s[26:27], 0x28
	s_waitcnt lgkmcnt(0)
	s_cmp_eq_u64 s[12:13], 0
	v_mov_b32_e32 v1, s15
	s_cbranch_scc1 .LBB74_7
; %bb.6:
	v_mov_b32_e32 v1, 0
	global_load_dword v1, v1, s[12:13]
.LBB74_7:
	s_mul_i32 s12, s14, s11
	s_sub_i32 s12, s29, s12
	s_add_i32 s13, s14, 1
	s_sub_i32 s15, s12, s11
	s_cmp_ge_u32 s12, s11
	s_cselect_b32 s13, s13, s14
	s_cselect_b32 s12, s15, s12
	s_add_i32 s14, s13, 1
	s_cmp_ge_u32 s12, s11
	s_cselect_b32 s12, s14, s13
	s_mul_i32 s11, s12, s11
	s_sub_i32 s11, s29, s11
	v_and_b32_e32 v2, 15, v41
	v_lshrrev_b32_e32 v4, 4, v41
	v_lshl_or_b32 v3, s11, 4, v2
	v_lshl_add_u32 v2, s12, 4, v4
	v_cmp_gt_u32_e32 vcc, s4, v3
	v_cmp_gt_u32_e64 s[4:5], s5, v2
	s_and_b64 s[4:5], vcc, s[4:5]
	s_and_saveexec_b64 s[12:13], s[4:5]
	s_cbranch_execz .LBB74_13
; %bb.8:
	s_load_dwordx4 s[12:15], s[26:27], 0x0
	s_load_dwordx2 s[4:5], s[26:27], 0x10
	s_mul_i32 s9, s9, s28
	v_mov_b32_e32 v5, 0
	v_mov_b32_e32 v4, 0
	s_waitcnt lgkmcnt(0)
	s_cmp_eq_u64 s[14:15], 0
	s_cbranch_scc1 .LBB74_10
; %bb.9:
	s_bitcmp1_b32 s10, 0
	s_cselect_b64 vcc, -1, 0
	v_cndmask_b32_e32 v4, v2, v3, vcc
	v_mul_lo_u32 v4, v4, s6
	v_cndmask_b32_e32 v6, v3, v2, vcc
	v_add3_u32 v4, v6, s9, v4
	global_load_sbyte v4, v4, s[14:15]
	s_waitcnt vmcnt(0)
	v_cvt_f32_i32_e32 v4, v4
.LBB74_10:
	s_cmp_eq_u64 s[4:5], 0
	s_cbranch_scc1 .LBB74_12
; %bb.11:
	s_load_dword s6, s[26:27], 0x50
	s_waitcnt lgkmcnt(0)
	s_bitcmp1_b32 s6, 8
	s_cselect_b64 vcc, -1, 0
	v_cndmask_b32_e32 v5, v3, v2, vcc
	v_mul_lo_u32 v5, v5, s7
	v_cndmask_b32_e32 v6, v2, v3, vcc
	v_add3_u32 v5, v6, s9, v5
	global_load_sbyte v5, v5, s[4:5]
	s_waitcnt vmcnt(0)
	v_cvt_f32_i32_e32 v5, v5
.LBB74_12:
	s_waitcnt vmcnt(0)
	v_mul_f32_e32 v1, v1, v5
	v_fmac_f32_e32 v1, v0, v4
	v_mul_lo_u32 v0, v3, s8
	v_cvt_i32_f32_e32 v1, v1
	v_add3_u32 v0, v2, s9, v0
	global_store_byte v0, v1, s[12:13]
.LBB74_13:
	s_endpgm
	.section	.rodata,"a",@progbits
	.p2align	6, 0x0
	.amdhsa_kernel Transform_I8_S_011_16_16_VW_1
		.amdhsa_group_segment_fixed_size 0
		.amdhsa_private_segment_fixed_size 64
		.amdhsa_kernarg_size 344
		.amdhsa_user_sgpr_count 8
		.amdhsa_user_sgpr_private_segment_buffer 1
		.amdhsa_user_sgpr_dispatch_ptr 0
		.amdhsa_user_sgpr_queue_ptr 0
		.amdhsa_user_sgpr_kernarg_segment_ptr 1
		.amdhsa_user_sgpr_dispatch_id 0
		.amdhsa_user_sgpr_flat_scratch_init 1
		.amdhsa_user_sgpr_private_segment_size 0
		.amdhsa_uses_dynamic_stack 0
		.amdhsa_system_sgpr_private_segment_wavefront_offset 1
		.amdhsa_system_sgpr_workgroup_id_x 1
		.amdhsa_system_sgpr_workgroup_id_y 0
		.amdhsa_system_sgpr_workgroup_id_z 1
		.amdhsa_system_sgpr_workgroup_info 0
		.amdhsa_system_vgpr_workitem_id 0
		.amdhsa_next_free_vgpr 42
		.amdhsa_next_free_sgpr 34
		.amdhsa_reserve_vcc 1
		.amdhsa_reserve_flat_scratch 1
		.amdhsa_float_round_mode_32 0
		.amdhsa_float_round_mode_16_64 0
		.amdhsa_float_denorm_mode_32 3
		.amdhsa_float_denorm_mode_16_64 3
		.amdhsa_dx10_clamp 1
		.amdhsa_ieee_mode 1
		.amdhsa_fp16_overflow 0
		.amdhsa_exception_fp_ieee_invalid_op 0
		.amdhsa_exception_fp_denorm_src 0
		.amdhsa_exception_fp_ieee_div_zero 0
		.amdhsa_exception_fp_ieee_overflow 0
		.amdhsa_exception_fp_ieee_underflow 0
		.amdhsa_exception_fp_ieee_inexact 0
		.amdhsa_exception_int_div_zero 0
	.end_amdhsa_kernel
	.text
.Lfunc_end74:
	.size	Transform_I8_S_011_16_16_VW_1, .Lfunc_end74-Transform_I8_S_011_16_16_VW_1
                                        ; -- End function
	.set Transform_I8_S_011_16_16_VW_1.num_vgpr, max(42, .L__assert_fail.num_vgpr)
	.set Transform_I8_S_011_16_16_VW_1.num_agpr, max(0, .L__assert_fail.num_agpr)
	.set Transform_I8_S_011_16_16_VW_1.numbered_sgpr, max(33, .L__assert_fail.numbered_sgpr)
	.set Transform_I8_S_011_16_16_VW_1.num_named_barrier, max(0, .L__assert_fail.num_named_barrier)
	.set Transform_I8_S_011_16_16_VW_1.private_seg_size, 0+max(.L__assert_fail.private_seg_size)
	.set Transform_I8_S_011_16_16_VW_1.uses_vcc, or(1, .L__assert_fail.uses_vcc)
	.set Transform_I8_S_011_16_16_VW_1.uses_flat_scratch, or(1, .L__assert_fail.uses_flat_scratch)
	.set Transform_I8_S_011_16_16_VW_1.has_dyn_sized_stack, or(0, .L__assert_fail.has_dyn_sized_stack)
	.set Transform_I8_S_011_16_16_VW_1.has_recursion, or(0, .L__assert_fail.has_recursion)
	.set Transform_I8_S_011_16_16_VW_1.has_indirect_call, or(0, .L__assert_fail.has_indirect_call)
	.section	.AMDGPU.csdata,"",@progbits
; Kernel info:
; codeLenInByte = 608
; TotalNumSgprs: 40
; NumVgprs: 42
; ScratchSize: 64
; MemoryBound: 0
; FloatMode: 240
; IeeeMode: 1
; LDSByteSize: 0 bytes/workgroup (compile time only)
; SGPRBlocks: 4
; VGPRBlocks: 10
; NumSGPRsForWavesPerEU: 40
; NumVGPRsForWavesPerEU: 42
; Occupancy: 5
; WaveLimiterHint : 1
; COMPUTE_PGM_RSRC2:SCRATCH_EN: 1
; COMPUTE_PGM_RSRC2:USER_SGPR: 8
; COMPUTE_PGM_RSRC2:TRAP_HANDLER: 0
; COMPUTE_PGM_RSRC2:TGID_X_EN: 1
; COMPUTE_PGM_RSRC2:TGID_Y_EN: 0
; COMPUTE_PGM_RSRC2:TGID_Z_EN: 1
; COMPUTE_PGM_RSRC2:TIDIG_COMP_CNT: 0
	.text
	.protected	Transform_I8_S_011_16_16_VW_4 ; -- Begin function Transform_I8_S_011_16_16_VW_4
	.globl	Transform_I8_S_011_16_16_VW_4
	.p2align	8
	.type	Transform_I8_S_011_16_16_VW_4,@function
Transform_I8_S_011_16_16_VW_4:          ; @Transform_I8_S_011_16_16_VW_4
; %bb.0:
	s_mov_b64 s[26:27], s[4:5]
	s_load_dword s4, s[6:7], 0x64
	s_add_u32 flat_scratch_lo, s8, s12
	s_addc_u32 flat_scratch_hi, s9, 0
	s_add_u32 s0, s0, s12
	s_addc_u32 s1, s1, 0
	s_waitcnt lgkmcnt(0)
	s_and_b32 s4, s4, 0xffff
	s_mov_b32 s35, s11
	s_mov_b32 s34, s10
	s_mov_b64 s[28:29], s[6:7]
	v_mov_b32_e32 v41, v2
	v_mov_b32_e32 v42, v1
	;; [unrolled: 1-line block ×3, first 2 shown]
	s_cmpk_eq_i32 s4, 0x100
	s_mov_b64 s[4:5], -1
	s_mov_b32 s32, 0
	s_cbranch_scc1 .LBB75_2
; %bb.1:
	s_add_u32 s8, s28, 0x58
	s_addc_u32 s9, s29, 0
	s_getpc_b64 s[4:5]
	s_add_u32 s4, s4, __PRETTY_FUNCTION__._ZN10amd_detail9transformIafLb0ELb1ELb1ELj16ELj16ELj4EEEvPT_PKS1_S4_T0_PKS5_S5_S7_jjjjjjbb@rel32@lo+4
	s_addc_u32 s5, s5, __PRETTY_FUNCTION__._ZN10amd_detail9transformIafLb0ELb1ELb1ELj16ELj16ELj4EEEvPT_PKS1_S4_T0_PKS5_S5_S7_jjjjjjbb@rel32@hi+12
	s_getpc_b64 s[6:7]
	s_add_u32 s6, s6, __assert_fail@rel32@lo+4
	s_addc_u32 s7, s7, __assert_fail@rel32@hi+12
	v_mov_b32_e32 v0, s4
	v_mov_b32_e32 v1, s5
	s_swappc_b64 s[30:31], s[6:7]
	s_mov_b64 s[4:5], 0
	; divergent unreachable
.LBB75_2:
	s_andn2_b64 vcc, exec, s[4:5]
	s_cbranch_vccnz .LBB75_54
; %bb.3:
	s_load_dwordx4 s[12:15], s[28:29], 0x38
	s_waitcnt lgkmcnt(0)
	s_lshr_b32 s6, s12, 4
	s_and_b32 s4, s12, 15
	s_cmp_lg_u32 s4, 0
	s_cselect_b64 s[4:5], -1, 0
	s_cmp_lg_u64 s[4:5], 0
	s_addc_u32 s6, s6, 0
	v_cvt_f32_u32_e32 v0, s6
	s_load_dword s8, s[28:29], 0x18
	s_load_dwordx2 s[4:5], s[28:29], 0x20
	s_sub_i32 s7, 0, s6
	v_rcp_iflag_f32_e32 v0, v0
	s_waitcnt lgkmcnt(0)
	v_mov_b32_e32 v10, s8
	v_mul_f32_e32 v0, 0x4f7ffffe, v0
	v_cvt_u32_f32_e32 v0, v0
	v_readfirstlane_b32 s9, v0
	s_mul_i32 s7, s7, s9
	s_mul_hi_u32 s7, s9, s7
	s_add_i32 s9, s9, s7
	s_mul_hi_u32 s7, s34, s9
	s_cmp_eq_u64 s[4:5], 0
	s_cbranch_scc1 .LBB75_5
; %bb.4:
	v_mov_b32_e32 v0, 0
	global_load_dword v10, v0, s[4:5]
.LBB75_5:
	s_load_dwordx2 s[4:5], s[28:29], 0x30
	s_load_dword s8, s[28:29], 0x28
	s_waitcnt lgkmcnt(0)
	s_cmp_eq_u64 s[4:5], 0
	v_mov_b32_e32 v13, s8
	s_cbranch_scc1 .LBB75_7
; %bb.6:
	v_mov_b32_e32 v0, 0
	global_load_dword v13, v0, s[4:5]
.LBB75_7:
	s_mul_i32 s4, s7, s6
	s_sub_i32 s4, s34, s4
	s_add_i32 s5, s7, 1
	s_sub_i32 s8, s4, s6
	s_cmp_ge_u32 s4, s6
	s_cselect_b32 s5, s5, s7
	s_cselect_b32 s4, s8, s4
	s_add_i32 s7, s5, 1
	s_cmp_ge_u32 s4, s6
	s_cselect_b32 s4, s7, s5
	s_mul_i32 s30, s4, s6
	s_sub_i32 s5, s34, s30
	v_and_b32_e32 v7, 15, v43
	v_lshl_or_b32 v0, s5, 4, v7
	v_cmp_gt_u32_e32 vcc, s12, v0
	s_and_saveexec_b64 s[6:7], vcc
	s_cbranch_execz .LBB75_54
; %bb.8:
	v_lshrrev_b32_e32 v1, 2, v43
	s_lshl_b32 s12, s4, 6
	v_and_b32_e32 v9, 0xfc, v1
	s_load_dwordx4 s[20:23], s[28:29], 0x48
	v_add_u32_e32 v8, s12, v9
	v_add_u32_e32 v11, 4, v8
	v_sub_u32_e64 v12, v11, s13 clamp
	s_load_dwordx4 s[16:19], s[28:29], 0x0
	s_load_dwordx2 s[24:25], s[28:29], 0x10
	v_sub_u32_e32 v3, v8, v12
	v_mad_u64_u32 v[1:2], s[4:5], v0, s14, v[3:4]
	s_waitcnt lgkmcnt(0)
	s_bitcmp1_b32 s22, 0
	s_cselect_b64 vcc, -1, 0
	s_cmp_lg_u64 s[18:19], 0
	s_mul_i32 s21, s21, s35
	s_cselect_b64 s[10:11], -1, 0
	s_cmp_eq_u64 s[18:19], 0
	v_mov_b32_e32 v15, 0
	v_mov_b32_e32 v14, 0
	s_cbranch_scc1 .LBB75_10
; %bb.9:
	v_mad_u64_u32 v[4:5], s[4:5], v3, s14, v[0:1]
	v_cndmask_b32_e32 v2, v4, v1, vcc
	v_add_u32_e32 v2, s21, v2
	global_load_sbyte v2, v2, s[18:19]
	s_waitcnt vmcnt(0)
	v_cvt_f32_i32_e32 v14, v2
.LBB75_10:
	s_load_dword s6, s[28:29], 0x50
	s_xor_b64 s[8:9], vcc, -1
	v_mad_u64_u32 v[4:5], s[4:5], v0, s15, v[3:4]
	v_mul_lo_u32 v16, v3, s15
	s_waitcnt lgkmcnt(0)
	s_bitcmp1_b32 s6, 8
	s_cselect_b64 s[6:7], -1, 0
	s_cmp_lg_u64 s[24:25], 0
	s_cselect_b64 s[22:23], -1, 0
	s_cmp_eq_u64 s[24:25], 0
	s_cbranch_scc1 .LBB75_12
; %bb.11:
	v_add_u32_e32 v2, v16, v0
	v_cndmask_b32_e64 v2, v4, v2, s[6:7]
	v_add_u32_e32 v2, s21, v2
	global_load_sbyte v2, v2, s[24:25]
	s_waitcnt vmcnt(0)
	v_cvt_f32_i32_e32 v15, v2
.LBB75_12:
	v_cndmask_b32_e64 v2, 0, 1, s[8:9]
	v_cmp_ne_u32_e64 s[4:5], 1, v2
	s_andn2_b64 vcc, exec, s[8:9]
	s_cbranch_vccnz .LBB75_14
; %bb.13:
	v_mul_lo_u32 v2, s14, v3
	v_add3_u32 v2, v2, s14, v0
	s_xor_b64 s[8:9], s[6:7], -1
	s_cbranch_execz .LBB75_15
	s_branch .LBB75_16
.LBB75_14:
                                        ; implicit-def: $vgpr2
	s_xor_b64 s[8:9], s[6:7], -1
.LBB75_15:
	v_add_u32_e32 v2, 1, v1
.LBB75_16:
	v_cndmask_b32_e64 v5, 0, 1, s[8:9]
	v_cmp_ne_u32_e64 s[6:7], 1, v5
	s_andn2_b64 vcc, exec, s[8:9]
	s_cbranch_vccnz .LBB75_18
; %bb.17:
	v_add_u32_e32 v5, 1, v4
	s_cbranch_execz .LBB75_19
	s_branch .LBB75_20
.LBB75_18:
                                        ; implicit-def: $vgpr5
.LBB75_19:
	v_add3_u32 v5, v16, s15, v0
.LBB75_20:
	v_cndmask_b32_e64 v6, 0, 1, s[10:11]
	v_mov_b32_e32 v18, 0
	v_cmp_ne_u32_e64 s[8:9], 1, v6
	s_andn2_b64 vcc, exec, s[10:11]
	v_mov_b32_e32 v17, 0
	s_cbranch_vccnz .LBB75_22
; %bb.21:
	v_add_u32_e32 v2, s21, v2
	global_load_sbyte v2, v2, s[18:19]
	s_waitcnt vmcnt(0)
	v_cvt_f32_i32_e32 v17, v2
.LBB75_22:
	v_cndmask_b32_e64 v2, 0, 1, s[22:23]
	v_cmp_ne_u32_e64 s[10:11], 1, v2
	s_andn2_b64 vcc, exec, s[22:23]
	s_cbranch_vccnz .LBB75_24
; %bb.23:
	v_add_u32_e32 v2, s21, v5
	global_load_sbyte v2, v2, s[24:25]
	s_waitcnt vmcnt(0)
	v_cvt_f32_i32_e32 v18, v2
.LBB75_24:
	s_and_b64 vcc, exec, s[4:5]
	s_cbranch_vccnz .LBB75_26
; %bb.25:
	v_add_u32_e32 v2, 2, v3
	v_mad_u64_u32 v[5:6], s[22:23], v2, s14, v[0:1]
	s_cbranch_execz .LBB75_27
	s_branch .LBB75_28
.LBB75_26:
                                        ; implicit-def: $vgpr5
.LBB75_27:
	v_add_u32_e32 v5, 2, v1
.LBB75_28:
	s_and_b64 vcc, exec, s[6:7]
	s_cbranch_vccnz .LBB75_30
; %bb.29:
	v_add_u32_e32 v2, 2, v4
	s_cbranch_execz .LBB75_31
	s_branch .LBB75_32
.LBB75_30:
                                        ; implicit-def: $vgpr2
.LBB75_31:
	s_lshl_b32 s22, s15, 1
	v_add3_u32 v2, v16, s22, v0
.LBB75_32:
	v_mov_b32_e32 v19, 0
	s_and_b64 vcc, exec, s[8:9]
	v_mov_b32_e32 v6, 0
	s_cbranch_vccnz .LBB75_34
; %bb.33:
	v_add_u32_e32 v5, s21, v5
	global_load_sbyte v5, v5, s[18:19]
	s_waitcnt vmcnt(0)
	v_cvt_f32_i32_e32 v6, v5
.LBB75_34:
	s_and_b64 vcc, exec, s[10:11]
	s_cbranch_vccnz .LBB75_36
; %bb.35:
	v_add_u32_e32 v2, s21, v2
	global_load_sbyte v2, v2, s[24:25]
	s_waitcnt vmcnt(0)
	v_cvt_f32_i32_e32 v19, v2
.LBB75_36:
	s_and_b64 vcc, exec, s[4:5]
	s_cbranch_vccnz .LBB75_38
; %bb.37:
	v_add_u32_e32 v2, 3, v3
	v_mad_u64_u32 v[2:3], s[4:5], v2, s14, v[0:1]
	s_cbranch_execz .LBB75_39
	s_branch .LBB75_40
.LBB75_38:
                                        ; implicit-def: $vgpr2
.LBB75_39:
	v_add_u32_e32 v2, 3, v1
.LBB75_40:
	s_and_b64 vcc, exec, s[6:7]
	s_cbranch_vccnz .LBB75_42
; %bb.41:
	v_add_u32_e32 v1, 3, v4
	s_cbranch_execz .LBB75_43
	s_branch .LBB75_44
.LBB75_42:
                                        ; implicit-def: $vgpr1
.LBB75_43:
	s_mul_i32 s4, s15, 3
	v_add3_u32 v1, v16, s4, v0
.LBB75_44:
	v_mov_b32_e32 v4, 0
	s_and_b64 vcc, exec, s[8:9]
	v_mov_b32_e32 v3, 0
	s_cbranch_vccnz .LBB75_46
; %bb.45:
	v_add_u32_e32 v2, s21, v2
	global_load_sbyte v2, v2, s[18:19]
	s_waitcnt vmcnt(0)
	v_cvt_f32_i32_e32 v3, v2
.LBB75_46:
	s_and_b64 vcc, exec, s[10:11]
	s_cbranch_vccnz .LBB75_48
; %bb.47:
	v_add_u32_e32 v1, s21, v1
	global_load_sbyte v1, v1, s[24:25]
	s_waitcnt vmcnt(0)
	v_cvt_f32_i32_e32 v4, v1
.LBB75_48:
	s_load_dwordx2 s[4:5], s[26:27], 0x4
	s_waitcnt vmcnt(0)
	v_mul_f32_e32 v2, v13, v18
	v_mul_f32_e32 v4, v13, v4
	;; [unrolled: 1-line block ×4, first 2 shown]
	s_waitcnt lgkmcnt(0)
	s_lshr_b32 s4, s4, 16
	v_fmac_f32_e32 v2, v10, v17
	v_fmac_f32_e32 v4, v10, v3
	;; [unrolled: 1-line block ×3, first 2 shown]
	s_mul_i32 s4, s4, s5
	v_cvt_i32_f32_e32 v2, v2
	v_fmac_f32_e32 v15, v10, v6
	v_cvt_i32_f32_e32 v3, v4
	v_mul_lo_u32 v14, s4, v43
	v_cvt_i32_f32_e32 v5, v1
	v_cvt_i32_f32_e32 v4, v15
	v_lshlrev_b16_e32 v6, 8, v2
	v_lshlrev_b16_e32 v10, 8, v3
	v_mad_u32_u24 v1, v42, s5, v14
	v_or_b32_sdwa v6, v5, v6 dst_sel:DWORD dst_unused:UNUSED_PAD src0_sel:BYTE_0 src1_sel:DWORD
	v_or_b32_sdwa v10, v4, v10 dst_sel:WORD_1 dst_unused:UNUSED_PAD src0_sel:BYTE_0 src1_sel:DWORD
	v_add_lshl_u32 v1, v1, v41, 2
	v_or_b32_sdwa v6, v6, v10 dst_sel:DWORD dst_unused:UNUSED_PAD src0_sel:WORD_0 src1_sel:DWORD
	v_cmp_ge_u32_e32 vcc, s13, v11
	ds_write_b32 v1, v6
	s_and_saveexec_b64 s[4:5], vcc
	s_xor_b64 s[4:5], exec, s[4:5]
	s_cbranch_execz .LBB75_50
; %bb.49:
	v_mul_lo_u32 v0, v0, s20
                                        ; implicit-def: $vgpr11
                                        ; implicit-def: $vgpr7
                                        ; implicit-def: $vgpr9
	v_add3_u32 v0, v8, s21, v0
	v_sub_u32_e32 v0, v0, v12
	global_store_byte v0, v5, s[16:17]
	v_add_u32_e32 v1, 1, v0
	v_add_u32_e32 v5, 2, v0
	;; [unrolled: 1-line block ×3, first 2 shown]
	global_store_byte v1, v2, s[16:17]
	global_store_byte v5, v4, s[16:17]
	;; [unrolled: 1-line block ×3, first 2 shown]
                                        ; implicit-def: $vgpr12
                                        ; implicit-def: $vgpr1
                                        ; implicit-def: $vgpr8
.LBB75_50:
	s_andn2_saveexec_b64 s[4:5], s[4:5]
	s_cbranch_execz .LBB75_54
; %bb.51:
	v_cmp_gt_u32_e32 vcc, 4, v12
	s_and_b64 exec, exec, vcc
	s_cbranch_execz .LBB75_54
; %bb.52:
	v_lshl_or_b32 v2, s34, 4, v7
	s_lshl_b32 s4, s30, 4
	v_subrev_u32_e32 v2, s4, v2
	v_mul_lo_u32 v2, s20, v2
	v_min_u32_e32 v0, s13, v11
	v_sub_u32_e32 v0, v8, v0
	s_add_i32 s12, s12, s21
	v_add_u32_e32 v0, 3, v0
	v_add3_u32 v2, s12, v2, v9
	s_mov_b64 s[4:5], 0
.LBB75_53:                              ; =>This Inner Loop Header: Depth=1
	v_add_u32_e32 v3, v1, v0
	ds_read_u8 v3, v3 offset:1
	v_add_u32_e32 v0, 1, v0
	v_cmp_lt_u32_e32 vcc, 2, v0
	s_or_b64 s[4:5], vcc, s[4:5]
	s_waitcnt lgkmcnt(0)
	global_store_byte v2, v3, s[16:17]
	v_add_u32_e32 v2, 1, v2
	s_andn2_b64 exec, exec, s[4:5]
	s_cbranch_execnz .LBB75_53
.LBB75_54:
	s_endpgm
	.section	.rodata,"a",@progbits
	.p2align	6, 0x0
	.amdhsa_kernel Transform_I8_S_011_16_16_VW_4
		.amdhsa_group_segment_fixed_size 4096
		.amdhsa_private_segment_fixed_size 64
		.amdhsa_kernarg_size 344
		.amdhsa_user_sgpr_count 10
		.amdhsa_user_sgpr_private_segment_buffer 1
		.amdhsa_user_sgpr_dispatch_ptr 1
		.amdhsa_user_sgpr_queue_ptr 0
		.amdhsa_user_sgpr_kernarg_segment_ptr 1
		.amdhsa_user_sgpr_dispatch_id 0
		.amdhsa_user_sgpr_flat_scratch_init 1
		.amdhsa_user_sgpr_private_segment_size 0
		.amdhsa_uses_dynamic_stack 0
		.amdhsa_system_sgpr_private_segment_wavefront_offset 1
		.amdhsa_system_sgpr_workgroup_id_x 1
		.amdhsa_system_sgpr_workgroup_id_y 0
		.amdhsa_system_sgpr_workgroup_id_z 1
		.amdhsa_system_sgpr_workgroup_info 0
		.amdhsa_system_vgpr_workitem_id 2
		.amdhsa_next_free_vgpr 44
		.amdhsa_next_free_sgpr 36
		.amdhsa_reserve_vcc 1
		.amdhsa_reserve_flat_scratch 1
		.amdhsa_float_round_mode_32 0
		.amdhsa_float_round_mode_16_64 0
		.amdhsa_float_denorm_mode_32 3
		.amdhsa_float_denorm_mode_16_64 3
		.amdhsa_dx10_clamp 1
		.amdhsa_ieee_mode 1
		.amdhsa_fp16_overflow 0
		.amdhsa_exception_fp_ieee_invalid_op 0
		.amdhsa_exception_fp_denorm_src 0
		.amdhsa_exception_fp_ieee_div_zero 0
		.amdhsa_exception_fp_ieee_overflow 0
		.amdhsa_exception_fp_ieee_underflow 0
		.amdhsa_exception_fp_ieee_inexact 0
		.amdhsa_exception_int_div_zero 0
	.end_amdhsa_kernel
	.text
.Lfunc_end75:
	.size	Transform_I8_S_011_16_16_VW_4, .Lfunc_end75-Transform_I8_S_011_16_16_VW_4
                                        ; -- End function
	.set Transform_I8_S_011_16_16_VW_4.num_vgpr, max(44, .L__assert_fail.num_vgpr)
	.set Transform_I8_S_011_16_16_VW_4.num_agpr, max(0, .L__assert_fail.num_agpr)
	.set Transform_I8_S_011_16_16_VW_4.numbered_sgpr, max(36, .L__assert_fail.numbered_sgpr)
	.set Transform_I8_S_011_16_16_VW_4.num_named_barrier, max(0, .L__assert_fail.num_named_barrier)
	.set Transform_I8_S_011_16_16_VW_4.private_seg_size, 0+max(.L__assert_fail.private_seg_size)
	.set Transform_I8_S_011_16_16_VW_4.uses_vcc, or(1, .L__assert_fail.uses_vcc)
	.set Transform_I8_S_011_16_16_VW_4.uses_flat_scratch, or(1, .L__assert_fail.uses_flat_scratch)
	.set Transform_I8_S_011_16_16_VW_4.has_dyn_sized_stack, or(0, .L__assert_fail.has_dyn_sized_stack)
	.set Transform_I8_S_011_16_16_VW_4.has_recursion, or(0, .L__assert_fail.has_recursion)
	.set Transform_I8_S_011_16_16_VW_4.has_indirect_call, or(0, .L__assert_fail.has_indirect_call)
	.section	.AMDGPU.csdata,"",@progbits
; Kernel info:
; codeLenInByte = 1420
; TotalNumSgprs: 42
; NumVgprs: 44
; ScratchSize: 64
; MemoryBound: 0
; FloatMode: 240
; IeeeMode: 1
; LDSByteSize: 4096 bytes/workgroup (compile time only)
; SGPRBlocks: 5
; VGPRBlocks: 10
; NumSGPRsForWavesPerEU: 42
; NumVGPRsForWavesPerEU: 44
; Occupancy: 5
; WaveLimiterHint : 1
; COMPUTE_PGM_RSRC2:SCRATCH_EN: 1
; COMPUTE_PGM_RSRC2:USER_SGPR: 10
; COMPUTE_PGM_RSRC2:TRAP_HANDLER: 0
; COMPUTE_PGM_RSRC2:TGID_X_EN: 1
; COMPUTE_PGM_RSRC2:TGID_Y_EN: 0
; COMPUTE_PGM_RSRC2:TGID_Z_EN: 1
; COMPUTE_PGM_RSRC2:TIDIG_COMP_CNT: 2
	.text
	.protected	Transform_I8_S_010_16_16_VW_1 ; -- Begin function Transform_I8_S_010_16_16_VW_1
	.globl	Transform_I8_S_010_16_16_VW_1
	.p2align	8
	.type	Transform_I8_S_010_16_16_VW_1,@function
Transform_I8_S_010_16_16_VW_1:          ; @Transform_I8_S_010_16_16_VW_1
; %bb.0:
	s_mov_b64 s[26:27], s[4:5]
	s_load_dword s4, s[4:5], 0x64
	s_add_u32 flat_scratch_lo, s6, s10
	s_addc_u32 flat_scratch_hi, s7, 0
	s_add_u32 s0, s0, s10
	s_addc_u32 s1, s1, 0
	s_waitcnt lgkmcnt(0)
	s_and_b32 s4, s4, 0xffff
	s_mov_b32 s28, s9
	s_mov_b32 s29, s8
	v_mov_b32_e32 v41, v0
	s_cmpk_eq_i32 s4, 0x100
	s_mov_b64 s[4:5], -1
	s_mov_b32 s32, 0
	s_cbranch_scc1 .LBB76_2
; %bb.1:
	s_add_u32 s8, s26, 0x58
	s_addc_u32 s9, s27, 0
	s_getpc_b64 s[4:5]
	s_add_u32 s4, s4, __PRETTY_FUNCTION__._ZN10amd_detail9transformIafLb0ELb1ELb0ELj16ELj16ELj1EEEvPT_PKS1_S4_T0_PKS5_S5_S7_jjjjjjbb@rel32@lo+4
	s_addc_u32 s5, s5, __PRETTY_FUNCTION__._ZN10amd_detail9transformIafLb0ELb1ELb0ELj16ELj16ELj1EEEvPT_PKS1_S4_T0_PKS5_S5_S7_jjjjjjbb@rel32@hi+12
	s_getpc_b64 s[6:7]
	s_add_u32 s6, s6, __assert_fail@rel32@lo+4
	s_addc_u32 s7, s7, __assert_fail@rel32@hi+12
	v_mov_b32_e32 v0, s4
	v_mov_b32_e32 v1, s5
	s_swappc_b64 s[30:31], s[6:7]
	s_mov_b64 s[4:5], 0
	; divergent unreachable
.LBB76_2:
	s_andn2_b64 vcc, exec, s[4:5]
	s_cbranch_vccnz .LBB76_13
; %bb.3:
	s_load_dwordx8 s[4:11], s[26:27], 0x38
	s_waitcnt lgkmcnt(0)
	s_lshr_b32 s11, s4, 4
	s_and_b32 s12, s4, 15
	s_cmp_lg_u32 s12, 0
	s_cselect_b64 s[12:13], -1, 0
	s_cmp_lg_u64 s[12:13], 0
	s_addc_u32 s11, s11, 0
	v_cvt_f32_u32_e32 v0, s11
	s_load_dword s15, s[26:27], 0x18
	s_load_dwordx2 s[12:13], s[26:27], 0x20
	s_sub_i32 s14, 0, s11
	v_rcp_iflag_f32_e32 v0, v0
	v_mul_f32_e32 v0, 0x4f7ffffe, v0
	v_cvt_u32_f32_e32 v0, v0
	v_readfirstlane_b32 s16, v0
	s_mul_i32 s14, s14, s16
	s_mul_hi_u32 s14, s16, s14
	s_add_i32 s16, s16, s14
	s_mul_hi_u32 s14, s29, s16
	s_waitcnt lgkmcnt(0)
	s_cmp_eq_u64 s[12:13], 0
	v_mov_b32_e32 v0, s15
	s_cbranch_scc1 .LBB76_5
; %bb.4:
	v_mov_b32_e32 v0, 0
	global_load_dword v0, v0, s[12:13]
.LBB76_5:
	s_load_dwordx2 s[12:13], s[26:27], 0x30
	s_load_dword s15, s[26:27], 0x28
	s_waitcnt lgkmcnt(0)
	s_cmp_eq_u64 s[12:13], 0
	v_mov_b32_e32 v1, s15
	s_cbranch_scc1 .LBB76_7
; %bb.6:
	v_mov_b32_e32 v1, 0
	global_load_dword v1, v1, s[12:13]
.LBB76_7:
	s_mul_i32 s12, s14, s11
	s_sub_i32 s12, s29, s12
	s_add_i32 s13, s14, 1
	s_sub_i32 s15, s12, s11
	s_cmp_ge_u32 s12, s11
	s_cselect_b32 s13, s13, s14
	s_cselect_b32 s12, s15, s12
	s_add_i32 s14, s13, 1
	s_cmp_ge_u32 s12, s11
	s_cselect_b32 s12, s14, s13
	s_mul_i32 s11, s12, s11
	s_sub_i32 s11, s29, s11
	v_and_b32_e32 v2, 15, v41
	v_lshrrev_b32_e32 v3, 4, v41
	v_lshl_or_b32 v2, s11, 4, v2
	v_lshl_add_u32 v3, s12, 4, v3
	v_cmp_gt_u32_e32 vcc, s4, v2
	v_cmp_gt_u32_e64 s[4:5], s5, v3
	s_and_b64 s[4:5], vcc, s[4:5]
	s_and_saveexec_b64 s[12:13], s[4:5]
	s_cbranch_execz .LBB76_13
; %bb.8:
	s_load_dwordx4 s[12:15], s[26:27], 0x0
	s_load_dwordx2 s[4:5], s[26:27], 0x10
	s_mul_i32 s9, s9, s28
	v_mov_b32_e32 v5, 0
	v_mov_b32_e32 v4, 0
	s_waitcnt lgkmcnt(0)
	s_cmp_eq_u64 s[14:15], 0
	s_cbranch_scc1 .LBB76_10
; %bb.9:
	s_bitcmp1_b32 s10, 0
	s_cselect_b64 vcc, -1, 0
	v_cndmask_b32_e32 v4, v3, v2, vcc
	v_mul_lo_u32 v4, v4, s6
	v_cndmask_b32_e32 v6, v2, v3, vcc
	v_add3_u32 v4, v6, s9, v4
	global_load_sbyte v4, v4, s[14:15]
	s_waitcnt vmcnt(0)
	v_cvt_f32_i32_e32 v4, v4
.LBB76_10:
	s_cmp_eq_u64 s[4:5], 0
	s_cbranch_scc1 .LBB76_12
; %bb.11:
	s_load_dword s6, s[26:27], 0x50
	s_waitcnt lgkmcnt(0)
	s_bitcmp1_b32 s6, 8
	s_cselect_b64 vcc, -1, 0
	v_cndmask_b32_e32 v5, v2, v3, vcc
	v_mul_lo_u32 v5, v5, s7
	v_cndmask_b32_e32 v6, v3, v2, vcc
	v_add3_u32 v5, v6, s9, v5
	global_load_sbyte v5, v5, s[4:5]
	s_waitcnt vmcnt(0)
	v_cvt_f32_i32_e32 v5, v5
.LBB76_12:
	s_waitcnt vmcnt(0)
	v_mul_f32_e32 v1, v1, v5
	v_fmac_f32_e32 v1, v0, v4
	v_mul_lo_u32 v0, v3, s8
	v_cvt_i32_f32_e32 v1, v1
	v_add3_u32 v0, v2, s9, v0
	global_store_byte v0, v1, s[12:13]
.LBB76_13:
	s_endpgm
	.section	.rodata,"a",@progbits
	.p2align	6, 0x0
	.amdhsa_kernel Transform_I8_S_010_16_16_VW_1
		.amdhsa_group_segment_fixed_size 0
		.amdhsa_private_segment_fixed_size 64
		.amdhsa_kernarg_size 344
		.amdhsa_user_sgpr_count 8
		.amdhsa_user_sgpr_private_segment_buffer 1
		.amdhsa_user_sgpr_dispatch_ptr 0
		.amdhsa_user_sgpr_queue_ptr 0
		.amdhsa_user_sgpr_kernarg_segment_ptr 1
		.amdhsa_user_sgpr_dispatch_id 0
		.amdhsa_user_sgpr_flat_scratch_init 1
		.amdhsa_user_sgpr_private_segment_size 0
		.amdhsa_uses_dynamic_stack 0
		.amdhsa_system_sgpr_private_segment_wavefront_offset 1
		.amdhsa_system_sgpr_workgroup_id_x 1
		.amdhsa_system_sgpr_workgroup_id_y 0
		.amdhsa_system_sgpr_workgroup_id_z 1
		.amdhsa_system_sgpr_workgroup_info 0
		.amdhsa_system_vgpr_workitem_id 0
		.amdhsa_next_free_vgpr 42
		.amdhsa_next_free_sgpr 34
		.amdhsa_reserve_vcc 1
		.amdhsa_reserve_flat_scratch 1
		.amdhsa_float_round_mode_32 0
		.amdhsa_float_round_mode_16_64 0
		.amdhsa_float_denorm_mode_32 3
		.amdhsa_float_denorm_mode_16_64 3
		.amdhsa_dx10_clamp 1
		.amdhsa_ieee_mode 1
		.amdhsa_fp16_overflow 0
		.amdhsa_exception_fp_ieee_invalid_op 0
		.amdhsa_exception_fp_denorm_src 0
		.amdhsa_exception_fp_ieee_div_zero 0
		.amdhsa_exception_fp_ieee_overflow 0
		.amdhsa_exception_fp_ieee_underflow 0
		.amdhsa_exception_fp_ieee_inexact 0
		.amdhsa_exception_int_div_zero 0
	.end_amdhsa_kernel
	.text
.Lfunc_end76:
	.size	Transform_I8_S_010_16_16_VW_1, .Lfunc_end76-Transform_I8_S_010_16_16_VW_1
                                        ; -- End function
	.set Transform_I8_S_010_16_16_VW_1.num_vgpr, max(42, .L__assert_fail.num_vgpr)
	.set Transform_I8_S_010_16_16_VW_1.num_agpr, max(0, .L__assert_fail.num_agpr)
	.set Transform_I8_S_010_16_16_VW_1.numbered_sgpr, max(33, .L__assert_fail.numbered_sgpr)
	.set Transform_I8_S_010_16_16_VW_1.num_named_barrier, max(0, .L__assert_fail.num_named_barrier)
	.set Transform_I8_S_010_16_16_VW_1.private_seg_size, 0+max(.L__assert_fail.private_seg_size)
	.set Transform_I8_S_010_16_16_VW_1.uses_vcc, or(1, .L__assert_fail.uses_vcc)
	.set Transform_I8_S_010_16_16_VW_1.uses_flat_scratch, or(1, .L__assert_fail.uses_flat_scratch)
	.set Transform_I8_S_010_16_16_VW_1.has_dyn_sized_stack, or(0, .L__assert_fail.has_dyn_sized_stack)
	.set Transform_I8_S_010_16_16_VW_1.has_recursion, or(0, .L__assert_fail.has_recursion)
	.set Transform_I8_S_010_16_16_VW_1.has_indirect_call, or(0, .L__assert_fail.has_indirect_call)
	.section	.AMDGPU.csdata,"",@progbits
; Kernel info:
; codeLenInByte = 608
; TotalNumSgprs: 40
; NumVgprs: 42
; ScratchSize: 64
; MemoryBound: 0
; FloatMode: 240
; IeeeMode: 1
; LDSByteSize: 0 bytes/workgroup (compile time only)
; SGPRBlocks: 4
; VGPRBlocks: 10
; NumSGPRsForWavesPerEU: 40
; NumVGPRsForWavesPerEU: 42
; Occupancy: 5
; WaveLimiterHint : 1
; COMPUTE_PGM_RSRC2:SCRATCH_EN: 1
; COMPUTE_PGM_RSRC2:USER_SGPR: 8
; COMPUTE_PGM_RSRC2:TRAP_HANDLER: 0
; COMPUTE_PGM_RSRC2:TGID_X_EN: 1
; COMPUTE_PGM_RSRC2:TGID_Y_EN: 0
; COMPUTE_PGM_RSRC2:TGID_Z_EN: 1
; COMPUTE_PGM_RSRC2:TIDIG_COMP_CNT: 0
	.text
	.protected	Transform_I8_S_010_16_16_VW_4 ; -- Begin function Transform_I8_S_010_16_16_VW_4
	.globl	Transform_I8_S_010_16_16_VW_4
	.p2align	8
	.type	Transform_I8_S_010_16_16_VW_4,@function
Transform_I8_S_010_16_16_VW_4:          ; @Transform_I8_S_010_16_16_VW_4
; %bb.0:
	s_mov_b64 s[26:27], s[4:5]
	s_load_dword s4, s[6:7], 0x64
	s_add_u32 flat_scratch_lo, s8, s12
	s_addc_u32 flat_scratch_hi, s9, 0
	s_add_u32 s0, s0, s12
	s_addc_u32 s1, s1, 0
	s_waitcnt lgkmcnt(0)
	s_and_b32 s4, s4, 0xffff
	s_mov_b32 s35, s11
	s_mov_b32 s34, s10
	s_mov_b64 s[28:29], s[6:7]
	v_mov_b32_e32 v41, v2
	v_mov_b32_e32 v42, v1
	;; [unrolled: 1-line block ×3, first 2 shown]
	s_cmpk_eq_i32 s4, 0x100
	s_mov_b64 s[4:5], -1
	s_mov_b32 s32, 0
	s_cbranch_scc1 .LBB77_2
; %bb.1:
	s_add_u32 s8, s28, 0x58
	s_addc_u32 s9, s29, 0
	s_getpc_b64 s[4:5]
	s_add_u32 s4, s4, __PRETTY_FUNCTION__._ZN10amd_detail9transformIafLb0ELb1ELb0ELj16ELj16ELj4EEEvPT_PKS1_S4_T0_PKS5_S5_S7_jjjjjjbb@rel32@lo+4
	s_addc_u32 s5, s5, __PRETTY_FUNCTION__._ZN10amd_detail9transformIafLb0ELb1ELb0ELj16ELj16ELj4EEEvPT_PKS1_S4_T0_PKS5_S5_S7_jjjjjjbb@rel32@hi+12
	s_getpc_b64 s[6:7]
	s_add_u32 s6, s6, __assert_fail@rel32@lo+4
	s_addc_u32 s7, s7, __assert_fail@rel32@hi+12
	v_mov_b32_e32 v0, s4
	v_mov_b32_e32 v1, s5
	s_swappc_b64 s[30:31], s[6:7]
	s_mov_b64 s[4:5], 0
	; divergent unreachable
.LBB77_2:
	s_andn2_b64 vcc, exec, s[4:5]
	s_cbranch_vccnz .LBB77_54
; %bb.3:
	s_load_dwordx8 s[12:19], s[28:29], 0x38
	s_waitcnt lgkmcnt(0)
	s_lshr_b32 s6, s12, 6
	s_and_b32 s4, s12, 63
	s_cmp_lg_u32 s4, 0
	s_cselect_b64 s[4:5], -1, 0
	s_cmp_lg_u64 s[4:5], 0
	s_addc_u32 s6, s6, 0
	v_cvt_f32_u32_e32 v0, s6
	s_load_dword s8, s[28:29], 0x18
	s_load_dwordx2 s[4:5], s[28:29], 0x20
	s_sub_i32 s7, 0, s6
	v_rcp_iflag_f32_e32 v0, v0
	s_waitcnt lgkmcnt(0)
	v_mov_b32_e32 v8, s8
	v_mul_f32_e32 v0, 0x4f7ffffe, v0
	v_cvt_u32_f32_e32 v0, v0
	v_readfirstlane_b32 s9, v0
	s_mul_i32 s7, s7, s9
	s_mul_hi_u32 s7, s9, s7
	s_add_i32 s9, s9, s7
	s_mul_hi_u32 s7, s34, s9
	s_cmp_eq_u64 s[4:5], 0
	s_cbranch_scc1 .LBB77_5
; %bb.4:
	v_mov_b32_e32 v0, 0
	global_load_dword v8, v0, s[4:5]
.LBB77_5:
	s_load_dwordx2 s[4:5], s[28:29], 0x30
	s_load_dword s8, s[28:29], 0x28
	s_waitcnt lgkmcnt(0)
	s_cmp_eq_u64 s[4:5], 0
	v_mov_b32_e32 v11, s8
	s_cbranch_scc1 .LBB77_7
; %bb.6:
	v_mov_b32_e32 v0, 0
	global_load_dword v11, v0, s[4:5]
.LBB77_7:
	s_mul_i32 s4, s7, s6
	s_sub_i32 s4, s34, s4
	s_add_i32 s5, s7, 1
	s_sub_i32 s8, s4, s6
	s_cmp_ge_u32 s4, s6
	s_cselect_b32 s5, s5, s7
	s_cselect_b32 s4, s8, s4
	s_add_i32 s7, s5, 1
	s_cmp_ge_u32 s4, s6
	s_cselect_b32 s30, s7, s5
	v_lshrrev_b32_e32 v0, 4, v43
	v_lshl_add_u32 v0, s30, 4, v0
	v_cmp_gt_u32_e32 vcc, s13, v0
	s_and_saveexec_b64 s[4:5], vcc
	s_cbranch_execz .LBB77_54
; %bb.8:
	s_mul_i32 s30, s30, s6
	v_lshlrev_b32_e32 v1, 2, v43
	s_sub_i32 s4, s34, s30
	v_and_b32_e32 v9, 60, v1
	v_lshl_or_b32 v12, s4, 6, v9
	v_add_u32_e32 v13, 4, v12
	s_load_dwordx4 s[20:23], s[28:29], 0x0
	s_load_dwordx2 s[24:25], s[28:29], 0x10
	v_sub_u32_e64 v10, v13, s12 clamp
	v_sub_u32_e32 v3, v12, v10
	v_mad_u64_u32 v[4:5], s[4:5], v0, s14, v[3:4]
	s_bitcmp1_b32 s18, 0
	s_cselect_b64 vcc, -1, 0
	s_waitcnt lgkmcnt(0)
	s_cmp_lg_u64 s[22:23], 0
	s_mul_i32 s13, s17, s35
	s_cselect_b64 s[10:11], -1, 0
	s_cmp_eq_u64 s[22:23], 0
	v_mov_b32_e32 v15, 0
	v_mov_b32_e32 v14, 0
	s_cbranch_scc1 .LBB77_10
; %bb.9:
	v_mad_u64_u32 v[1:2], s[4:5], v3, s14, v[0:1]
	v_cndmask_b32_e32 v1, v4, v1, vcc
	v_add_u32_e32 v1, s13, v1
	global_load_sbyte v1, v1, s[22:23]
	s_waitcnt vmcnt(0)
	v_cvt_f32_i32_e32 v14, v1
.LBB77_10:
	s_load_dword s6, s[28:29], 0x50
	s_xor_b64 s[8:9], vcc, -1
	v_mad_u64_u32 v[1:2], s[4:5], v0, s15, v[3:4]
	s_waitcnt lgkmcnt(0)
	s_bitcmp1_b32 s6, 8
	s_cselect_b64 s[6:7], -1, 0
	s_cmp_lg_u64 s[24:25], 0
	s_cselect_b64 s[18:19], -1, 0
	s_cmp_eq_u64 s[24:25], 0
	s_cbranch_scc1 .LBB77_12
; %bb.11:
	v_mad_u64_u32 v[5:6], s[4:5], v3, s15, v[0:1]
	v_cndmask_b32_e64 v2, v5, v1, s[6:7]
	v_add_u32_e32 v2, s13, v2
	global_load_sbyte v2, v2, s[24:25]
	s_waitcnt vmcnt(0)
	v_cvt_f32_i32_e32 v15, v2
.LBB77_12:
	v_cndmask_b32_e64 v2, 0, 1, s[8:9]
	v_cmp_ne_u32_e64 s[4:5], 1, v2
	s_andn2_b64 vcc, exec, s[8:9]
	s_cbranch_vccnz .LBB77_14
; %bb.13:
	v_add_u32_e32 v2, 1, v4
	s_xor_b64 s[8:9], s[6:7], -1
	s_cbranch_execz .LBB77_15
	s_branch .LBB77_16
.LBB77_14:
                                        ; implicit-def: $vgpr2
	s_xor_b64 s[8:9], s[6:7], -1
.LBB77_15:
	v_mul_lo_u32 v2, s14, v3
	v_add3_u32 v2, v2, s14, v0
.LBB77_16:
	v_cndmask_b32_e64 v5, 0, 1, s[8:9]
	v_cmp_ne_u32_e64 s[6:7], 1, v5
	s_andn2_b64 vcc, exec, s[8:9]
	s_cbranch_vccnz .LBB77_18
; %bb.17:
	v_mul_lo_u32 v5, s15, v3
	v_add3_u32 v5, v5, s15, v0
	s_cbranch_execz .LBB77_19
	s_branch .LBB77_20
.LBB77_18:
                                        ; implicit-def: $vgpr5
.LBB77_19:
	v_add_u32_e32 v5, 1, v1
.LBB77_20:
	v_cndmask_b32_e64 v6, 0, 1, s[10:11]
	v_mov_b32_e32 v17, 0
	v_cmp_ne_u32_e64 s[8:9], 1, v6
	s_andn2_b64 vcc, exec, s[10:11]
	v_mov_b32_e32 v16, 0
	s_cbranch_vccnz .LBB77_22
; %bb.21:
	v_add_u32_e32 v2, s13, v2
	global_load_sbyte v2, v2, s[22:23]
	s_waitcnt vmcnt(0)
	v_cvt_f32_i32_e32 v16, v2
.LBB77_22:
	v_cndmask_b32_e64 v2, 0, 1, s[18:19]
	v_cmp_ne_u32_e64 s[10:11], 1, v2
	s_andn2_b64 vcc, exec, s[18:19]
	s_cbranch_vccnz .LBB77_24
; %bb.23:
	v_add_u32_e32 v2, s13, v5
	global_load_sbyte v2, v2, s[24:25]
	s_waitcnt vmcnt(0)
	v_cvt_f32_i32_e32 v17, v2
.LBB77_24:
	s_and_b64 vcc, exec, s[4:5]
	s_cbranch_vccnz .LBB77_26
; %bb.25:
	v_add_u32_e32 v5, 2, v4
	v_add_u32_e32 v2, 2, v3
	s_cbranch_execz .LBB77_27
	s_branch .LBB77_28
.LBB77_26:
                                        ; implicit-def: $vgpr5
	v_add_u32_e32 v2, 2, v3
.LBB77_27:
	v_mad_u64_u32 v[5:6], s[18:19], v2, s14, v[0:1]
.LBB77_28:
	s_and_b64 vcc, exec, s[6:7]
	s_cbranch_vccnz .LBB77_30
; %bb.29:
	v_mad_u64_u32 v[6:7], s[18:19], v2, s15, v[0:1]
	s_cbranch_execz .LBB77_31
	s_branch .LBB77_32
.LBB77_30:
                                        ; implicit-def: $vgpr6
.LBB77_31:
	v_add_u32_e32 v6, 2, v1
.LBB77_32:
	v_mov_b32_e32 v18, 0
	s_and_b64 vcc, exec, s[8:9]
	v_mov_b32_e32 v7, 0
	s_cbranch_vccnz .LBB77_34
; %bb.33:
	v_add_u32_e32 v2, s13, v5
	global_load_sbyte v2, v2, s[22:23]
	s_waitcnt vmcnt(0)
	v_cvt_f32_i32_e32 v7, v2
.LBB77_34:
	s_and_b64 vcc, exec, s[10:11]
	s_cbranch_vccnz .LBB77_36
; %bb.35:
	v_add_u32_e32 v2, s13, v6
	global_load_sbyte v2, v2, s[24:25]
	s_waitcnt vmcnt(0)
	v_cvt_f32_i32_e32 v18, v2
.LBB77_36:
	s_and_b64 vcc, exec, s[4:5]
	s_cbranch_vccnz .LBB77_38
; %bb.37:
	v_add_u32_e32 v2, 3, v4
	v_add_u32_e32 v4, 3, v3
	s_cbranch_execz .LBB77_39
	s_branch .LBB77_40
.LBB77_38:
                                        ; implicit-def: $vgpr2
	v_add_u32_e32 v4, 3, v3
.LBB77_39:
	v_mad_u64_u32 v[2:3], s[4:5], v4, s14, v[0:1]
.LBB77_40:
	s_and_b64 vcc, exec, s[6:7]
	s_cbranch_vccnz .LBB77_42
; %bb.41:
	v_mad_u64_u32 v[3:4], s[4:5], v4, s15, v[0:1]
	s_cbranch_execz .LBB77_43
	s_branch .LBB77_44
.LBB77_42:
                                        ; implicit-def: $vgpr3
.LBB77_43:
	v_add_u32_e32 v3, 3, v1
.LBB77_44:
	v_mov_b32_e32 v5, 0
	s_and_b64 vcc, exec, s[8:9]
	v_mov_b32_e32 v4, 0
	s_cbranch_vccnz .LBB77_46
; %bb.45:
	v_add_u32_e32 v1, s13, v2
	global_load_sbyte v1, v1, s[22:23]
	s_waitcnt vmcnt(0)
	v_cvt_f32_i32_e32 v4, v1
.LBB77_46:
	s_and_b64 vcc, exec, s[10:11]
	s_cbranch_vccnz .LBB77_48
; %bb.47:
	v_add_u32_e32 v1, s13, v3
	global_load_sbyte v1, v1, s[24:25]
	s_waitcnt vmcnt(0)
	v_cvt_f32_i32_e32 v5, v1
.LBB77_48:
	s_load_dwordx2 s[4:5], s[26:27], 0x4
	s_waitcnt vmcnt(0)
	v_mul_f32_e32 v2, v11, v17
	v_mul_f32_e32 v5, v11, v5
	;; [unrolled: 1-line block ×4, first 2 shown]
	s_waitcnt lgkmcnt(0)
	s_lshr_b32 s4, s4, 16
	v_fmac_f32_e32 v2, v8, v16
	v_fmac_f32_e32 v5, v8, v4
	;; [unrolled: 1-line block ×3, first 2 shown]
	s_mul_i32 s4, s4, s5
	v_cvt_i32_f32_e32 v2, v2
	v_fmac_f32_e32 v6, v8, v7
	v_cvt_i32_f32_e32 v4, v5
	v_mul_lo_u32 v14, s4, v43
	v_cvt_i32_f32_e32 v3, v1
	v_cvt_i32_f32_e32 v5, v6
	v_mul_lo_u32 v0, v0, s16
	v_lshlrev_b16_e32 v6, 8, v2
	v_lshlrev_b16_e32 v7, 8, v4
	v_mad_u32_u24 v1, v42, s5, v14
	v_or_b32_sdwa v6, v3, v6 dst_sel:DWORD dst_unused:UNUSED_PAD src0_sel:BYTE_0 src1_sel:DWORD
	v_or_b32_sdwa v7, v5, v7 dst_sel:WORD_1 dst_unused:UNUSED_PAD src0_sel:BYTE_0 src1_sel:DWORD
	v_add_lshl_u32 v1, v1, v41, 2
	v_or_b32_sdwa v6, v6, v7 dst_sel:DWORD dst_unused:UNUSED_PAD src0_sel:WORD_0 src1_sel:DWORD
	v_cmp_ge_u32_e32 vcc, s12, v13
	ds_write_b32 v1, v6
	s_and_saveexec_b64 s[4:5], vcc
	s_xor_b64 s[4:5], exec, s[4:5]
	s_cbranch_execz .LBB77_50
; %bb.49:
	v_add_u32_e32 v1, s13, v12
	v_sub_u32_e32 v1, v1, v10
	v_add_u32_e32 v0, v1, v0
	v_add_u32_e32 v1, 1, v0
	global_store_byte v0, v3, s[20:21]
	global_store_byte v1, v2, s[20:21]
	v_add_u32_e32 v1, 2, v0
	v_add_u32_e32 v0, 3, v0
	global_store_byte v1, v5, s[20:21]
	global_store_byte v0, v4, s[20:21]
                                        ; implicit-def: $vgpr10
                                        ; implicit-def: $vgpr1
                                        ; implicit-def: $vgpr9
                                        ; implicit-def: $vgpr0
.LBB77_50:
	s_andn2_saveexec_b64 s[4:5], s[4:5]
	s_cbranch_execz .LBB77_54
; %bb.51:
	v_cmp_gt_u32_e32 vcc, 4, v10
	s_and_b64 exec, exec, vcc
	s_cbranch_execz .LBB77_54
; %bb.52:
	v_lshl_or_b32 v3, s34, 6, v9
	s_lshl_b32 s4, s30, 6
	v_subrev_u32_e32 v2, s4, v3
	v_add_u32_e32 v4, 4, v2
	v_min_u32_e32 v4, s12, v4
	v_sub_u32_e32 v2, v2, v4
	v_add3_u32 v0, s13, v0, v3
	v_add_u32_e32 v2, 3, v2
	v_subrev_u32_e32 v0, s4, v0
	s_mov_b64 s[4:5], 0
.LBB77_53:                              ; =>This Inner Loop Header: Depth=1
	v_add_u32_e32 v3, v1, v2
	ds_read_u8 v3, v3 offset:1
	v_add_u32_e32 v2, 1, v2
	v_cmp_lt_u32_e32 vcc, 2, v2
	s_or_b64 s[4:5], vcc, s[4:5]
	s_waitcnt lgkmcnt(0)
	global_store_byte v0, v3, s[20:21]
	v_add_u32_e32 v0, 1, v0
	s_andn2_b64 exec, exec, s[4:5]
	s_cbranch_execnz .LBB77_53
.LBB77_54:
	s_endpgm
	.section	.rodata,"a",@progbits
	.p2align	6, 0x0
	.amdhsa_kernel Transform_I8_S_010_16_16_VW_4
		.amdhsa_group_segment_fixed_size 4096
		.amdhsa_private_segment_fixed_size 64
		.amdhsa_kernarg_size 344
		.amdhsa_user_sgpr_count 10
		.amdhsa_user_sgpr_private_segment_buffer 1
		.amdhsa_user_sgpr_dispatch_ptr 1
		.amdhsa_user_sgpr_queue_ptr 0
		.amdhsa_user_sgpr_kernarg_segment_ptr 1
		.amdhsa_user_sgpr_dispatch_id 0
		.amdhsa_user_sgpr_flat_scratch_init 1
		.amdhsa_user_sgpr_private_segment_size 0
		.amdhsa_uses_dynamic_stack 0
		.amdhsa_system_sgpr_private_segment_wavefront_offset 1
		.amdhsa_system_sgpr_workgroup_id_x 1
		.amdhsa_system_sgpr_workgroup_id_y 0
		.amdhsa_system_sgpr_workgroup_id_z 1
		.amdhsa_system_sgpr_workgroup_info 0
		.amdhsa_system_vgpr_workitem_id 2
		.amdhsa_next_free_vgpr 44
		.amdhsa_next_free_sgpr 36
		.amdhsa_reserve_vcc 1
		.amdhsa_reserve_flat_scratch 1
		.amdhsa_float_round_mode_32 0
		.amdhsa_float_round_mode_16_64 0
		.amdhsa_float_denorm_mode_32 3
		.amdhsa_float_denorm_mode_16_64 3
		.amdhsa_dx10_clamp 1
		.amdhsa_ieee_mode 1
		.amdhsa_fp16_overflow 0
		.amdhsa_exception_fp_ieee_invalid_op 0
		.amdhsa_exception_fp_denorm_src 0
		.amdhsa_exception_fp_ieee_div_zero 0
		.amdhsa_exception_fp_ieee_overflow 0
		.amdhsa_exception_fp_ieee_underflow 0
		.amdhsa_exception_fp_ieee_inexact 0
		.amdhsa_exception_int_div_zero 0
	.end_amdhsa_kernel
	.text
.Lfunc_end77:
	.size	Transform_I8_S_010_16_16_VW_4, .Lfunc_end77-Transform_I8_S_010_16_16_VW_4
                                        ; -- End function
	.set Transform_I8_S_010_16_16_VW_4.num_vgpr, max(44, .L__assert_fail.num_vgpr)
	.set Transform_I8_S_010_16_16_VW_4.num_agpr, max(0, .L__assert_fail.num_agpr)
	.set Transform_I8_S_010_16_16_VW_4.numbered_sgpr, max(36, .L__assert_fail.numbered_sgpr)
	.set Transform_I8_S_010_16_16_VW_4.num_named_barrier, max(0, .L__assert_fail.num_named_barrier)
	.set Transform_I8_S_010_16_16_VW_4.private_seg_size, 0+max(.L__assert_fail.private_seg_size)
	.set Transform_I8_S_010_16_16_VW_4.uses_vcc, or(1, .L__assert_fail.uses_vcc)
	.set Transform_I8_S_010_16_16_VW_4.uses_flat_scratch, or(1, .L__assert_fail.uses_flat_scratch)
	.set Transform_I8_S_010_16_16_VW_4.has_dyn_sized_stack, or(0, .L__assert_fail.has_dyn_sized_stack)
	.set Transform_I8_S_010_16_16_VW_4.has_recursion, or(0, .L__assert_fail.has_recursion)
	.set Transform_I8_S_010_16_16_VW_4.has_indirect_call, or(0, .L__assert_fail.has_indirect_call)
	.section	.AMDGPU.csdata,"",@progbits
; Kernel info:
; codeLenInByte = 1408
; TotalNumSgprs: 42
; NumVgprs: 44
; ScratchSize: 64
; MemoryBound: 0
; FloatMode: 240
; IeeeMode: 1
; LDSByteSize: 4096 bytes/workgroup (compile time only)
; SGPRBlocks: 5
; VGPRBlocks: 10
; NumSGPRsForWavesPerEU: 42
; NumVGPRsForWavesPerEU: 44
; Occupancy: 5
; WaveLimiterHint : 1
; COMPUTE_PGM_RSRC2:SCRATCH_EN: 1
; COMPUTE_PGM_RSRC2:USER_SGPR: 10
; COMPUTE_PGM_RSRC2:TRAP_HANDLER: 0
; COMPUTE_PGM_RSRC2:TGID_X_EN: 1
; COMPUTE_PGM_RSRC2:TGID_Y_EN: 0
; COMPUTE_PGM_RSRC2:TGID_Z_EN: 1
; COMPUTE_PGM_RSRC2:TIDIG_COMP_CNT: 2
	.text
	.protected	Transform_I8_S_001_16_16_VW_1 ; -- Begin function Transform_I8_S_001_16_16_VW_1
	.globl	Transform_I8_S_001_16_16_VW_1
	.p2align	8
	.type	Transform_I8_S_001_16_16_VW_1,@function
Transform_I8_S_001_16_16_VW_1:          ; @Transform_I8_S_001_16_16_VW_1
; %bb.0:
	s_mov_b64 s[26:27], s[4:5]
	s_load_dword s4, s[4:5], 0x64
	s_add_u32 flat_scratch_lo, s6, s10
	s_addc_u32 flat_scratch_hi, s7, 0
	s_add_u32 s0, s0, s10
	s_addc_u32 s1, s1, 0
	s_waitcnt lgkmcnt(0)
	s_and_b32 s4, s4, 0xffff
	s_mov_b32 s28, s9
	s_mov_b32 s29, s8
	v_mov_b32_e32 v41, v0
	s_cmpk_eq_i32 s4, 0x100
	s_mov_b64 s[4:5], -1
	s_mov_b32 s32, 0
	s_cbranch_scc1 .LBB78_2
; %bb.1:
	s_add_u32 s8, s26, 0x58
	s_addc_u32 s9, s27, 0
	s_getpc_b64 s[4:5]
	s_add_u32 s4, s4, __PRETTY_FUNCTION__._ZN10amd_detail9transformIafLb0ELb0ELb1ELj16ELj16ELj1EEEvPT_PKS1_S4_T0_PKS5_S5_S7_jjjjjjbb@rel32@lo+4
	s_addc_u32 s5, s5, __PRETTY_FUNCTION__._ZN10amd_detail9transformIafLb0ELb0ELb1ELj16ELj16ELj1EEEvPT_PKS1_S4_T0_PKS5_S5_S7_jjjjjjbb@rel32@hi+12
	s_getpc_b64 s[6:7]
	s_add_u32 s6, s6, __assert_fail@rel32@lo+4
	s_addc_u32 s7, s7, __assert_fail@rel32@hi+12
	v_mov_b32_e32 v0, s4
	v_mov_b32_e32 v1, s5
	s_swappc_b64 s[30:31], s[6:7]
	s_mov_b64 s[4:5], 0
	; divergent unreachable
.LBB78_2:
	s_andn2_b64 vcc, exec, s[4:5]
	s_cbranch_vccnz .LBB78_13
; %bb.3:
	s_load_dwordx8 s[4:11], s[26:27], 0x38
	s_waitcnt lgkmcnt(0)
	s_lshr_b32 s11, s4, 4
	s_and_b32 s12, s4, 15
	s_cmp_lg_u32 s12, 0
	s_cselect_b64 s[12:13], -1, 0
	s_cmp_lg_u64 s[12:13], 0
	s_addc_u32 s11, s11, 0
	v_cvt_f32_u32_e32 v0, s11
	s_load_dword s15, s[26:27], 0x18
	s_load_dwordx2 s[12:13], s[26:27], 0x20
	s_sub_i32 s14, 0, s11
	v_rcp_iflag_f32_e32 v0, v0
	v_mul_f32_e32 v0, 0x4f7ffffe, v0
	v_cvt_u32_f32_e32 v0, v0
	v_readfirstlane_b32 s16, v0
	s_mul_i32 s14, s14, s16
	s_mul_hi_u32 s14, s16, s14
	s_add_i32 s16, s16, s14
	s_mul_hi_u32 s14, s29, s16
	s_waitcnt lgkmcnt(0)
	s_cmp_eq_u64 s[12:13], 0
	v_mov_b32_e32 v0, s15
	s_cbranch_scc1 .LBB78_5
; %bb.4:
	v_mov_b32_e32 v0, 0
	global_load_dword v0, v0, s[12:13]
.LBB78_5:
	s_load_dwordx2 s[12:13], s[26:27], 0x30
	s_load_dword s15, s[26:27], 0x28
	s_waitcnt lgkmcnt(0)
	s_cmp_eq_u64 s[12:13], 0
	v_mov_b32_e32 v1, s15
	s_cbranch_scc1 .LBB78_7
; %bb.6:
	v_mov_b32_e32 v1, 0
	global_load_dword v1, v1, s[12:13]
.LBB78_7:
	s_mul_i32 s12, s14, s11
	s_sub_i32 s12, s29, s12
	s_add_i32 s13, s14, 1
	s_sub_i32 s15, s12, s11
	s_cmp_ge_u32 s12, s11
	s_cselect_b32 s13, s13, s14
	s_cselect_b32 s12, s15, s12
	s_add_i32 s14, s13, 1
	s_cmp_ge_u32 s12, s11
	s_cselect_b32 s12, s14, s13
	s_mul_i32 s11, s12, s11
	s_sub_i32 s11, s29, s11
	v_and_b32_e32 v2, 15, v41
	v_lshrrev_b32_e32 v4, 4, v41
	v_lshl_or_b32 v3, s11, 4, v2
	v_lshl_add_u32 v2, s12, 4, v4
	v_cmp_gt_u32_e32 vcc, s4, v3
	v_cmp_gt_u32_e64 s[4:5], s5, v2
	s_and_b64 s[4:5], vcc, s[4:5]
	s_and_saveexec_b64 s[12:13], s[4:5]
	s_cbranch_execz .LBB78_13
; %bb.8:
	s_load_dwordx4 s[12:15], s[26:27], 0x0
	s_load_dwordx2 s[4:5], s[26:27], 0x10
	s_mul_i32 s9, s9, s28
	v_mov_b32_e32 v5, 0
	v_mov_b32_e32 v4, 0
	s_waitcnt lgkmcnt(0)
	s_cmp_eq_u64 s[14:15], 0
	s_cbranch_scc1 .LBB78_10
; %bb.9:
	s_bitcmp1_b32 s10, 0
	s_cselect_b64 vcc, -1, 0
	v_cndmask_b32_e32 v4, v2, v3, vcc
	v_mul_lo_u32 v4, v4, s6
	v_cndmask_b32_e32 v6, v3, v2, vcc
	v_add3_u32 v4, v6, s9, v4
	global_load_sbyte v4, v4, s[14:15]
	s_waitcnt vmcnt(0)
	v_cvt_f32_i32_e32 v4, v4
.LBB78_10:
	s_cmp_eq_u64 s[4:5], 0
	s_cbranch_scc1 .LBB78_12
; %bb.11:
	s_load_dword s6, s[26:27], 0x50
	s_waitcnt lgkmcnt(0)
	s_bitcmp1_b32 s6, 8
	s_cselect_b64 vcc, -1, 0
	v_cndmask_b32_e32 v5, v2, v3, vcc
	v_mul_lo_u32 v5, v5, s7
	v_cndmask_b32_e32 v6, v3, v2, vcc
	v_add3_u32 v5, v6, s9, v5
	global_load_sbyte v5, v5, s[4:5]
	s_waitcnt vmcnt(0)
	v_cvt_f32_i32_e32 v5, v5
.LBB78_12:
	s_waitcnt vmcnt(0)
	v_mul_f32_e32 v1, v1, v5
	v_fmac_f32_e32 v1, v0, v4
	v_mul_lo_u32 v0, v3, s8
	v_cvt_i32_f32_e32 v1, v1
	v_add3_u32 v0, v2, s9, v0
	global_store_byte v0, v1, s[12:13]
.LBB78_13:
	s_endpgm
	.section	.rodata,"a",@progbits
	.p2align	6, 0x0
	.amdhsa_kernel Transform_I8_S_001_16_16_VW_1
		.amdhsa_group_segment_fixed_size 0
		.amdhsa_private_segment_fixed_size 64
		.amdhsa_kernarg_size 344
		.amdhsa_user_sgpr_count 8
		.amdhsa_user_sgpr_private_segment_buffer 1
		.amdhsa_user_sgpr_dispatch_ptr 0
		.amdhsa_user_sgpr_queue_ptr 0
		.amdhsa_user_sgpr_kernarg_segment_ptr 1
		.amdhsa_user_sgpr_dispatch_id 0
		.amdhsa_user_sgpr_flat_scratch_init 1
		.amdhsa_user_sgpr_private_segment_size 0
		.amdhsa_uses_dynamic_stack 0
		.amdhsa_system_sgpr_private_segment_wavefront_offset 1
		.amdhsa_system_sgpr_workgroup_id_x 1
		.amdhsa_system_sgpr_workgroup_id_y 0
		.amdhsa_system_sgpr_workgroup_id_z 1
		.amdhsa_system_sgpr_workgroup_info 0
		.amdhsa_system_vgpr_workitem_id 0
		.amdhsa_next_free_vgpr 42
		.amdhsa_next_free_sgpr 34
		.amdhsa_reserve_vcc 1
		.amdhsa_reserve_flat_scratch 1
		.amdhsa_float_round_mode_32 0
		.amdhsa_float_round_mode_16_64 0
		.amdhsa_float_denorm_mode_32 3
		.amdhsa_float_denorm_mode_16_64 3
		.amdhsa_dx10_clamp 1
		.amdhsa_ieee_mode 1
		.amdhsa_fp16_overflow 0
		.amdhsa_exception_fp_ieee_invalid_op 0
		.amdhsa_exception_fp_denorm_src 0
		.amdhsa_exception_fp_ieee_div_zero 0
		.amdhsa_exception_fp_ieee_overflow 0
		.amdhsa_exception_fp_ieee_underflow 0
		.amdhsa_exception_fp_ieee_inexact 0
		.amdhsa_exception_int_div_zero 0
	.end_amdhsa_kernel
	.text
.Lfunc_end78:
	.size	Transform_I8_S_001_16_16_VW_1, .Lfunc_end78-Transform_I8_S_001_16_16_VW_1
                                        ; -- End function
	.set Transform_I8_S_001_16_16_VW_1.num_vgpr, max(42, .L__assert_fail.num_vgpr)
	.set Transform_I8_S_001_16_16_VW_1.num_agpr, max(0, .L__assert_fail.num_agpr)
	.set Transform_I8_S_001_16_16_VW_1.numbered_sgpr, max(33, .L__assert_fail.numbered_sgpr)
	.set Transform_I8_S_001_16_16_VW_1.num_named_barrier, max(0, .L__assert_fail.num_named_barrier)
	.set Transform_I8_S_001_16_16_VW_1.private_seg_size, 0+max(.L__assert_fail.private_seg_size)
	.set Transform_I8_S_001_16_16_VW_1.uses_vcc, or(1, .L__assert_fail.uses_vcc)
	.set Transform_I8_S_001_16_16_VW_1.uses_flat_scratch, or(1, .L__assert_fail.uses_flat_scratch)
	.set Transform_I8_S_001_16_16_VW_1.has_dyn_sized_stack, or(0, .L__assert_fail.has_dyn_sized_stack)
	.set Transform_I8_S_001_16_16_VW_1.has_recursion, or(0, .L__assert_fail.has_recursion)
	.set Transform_I8_S_001_16_16_VW_1.has_indirect_call, or(0, .L__assert_fail.has_indirect_call)
	.section	.AMDGPU.csdata,"",@progbits
; Kernel info:
; codeLenInByte = 608
; TotalNumSgprs: 40
; NumVgprs: 42
; ScratchSize: 64
; MemoryBound: 0
; FloatMode: 240
; IeeeMode: 1
; LDSByteSize: 0 bytes/workgroup (compile time only)
; SGPRBlocks: 4
; VGPRBlocks: 10
; NumSGPRsForWavesPerEU: 40
; NumVGPRsForWavesPerEU: 42
; Occupancy: 5
; WaveLimiterHint : 1
; COMPUTE_PGM_RSRC2:SCRATCH_EN: 1
; COMPUTE_PGM_RSRC2:USER_SGPR: 8
; COMPUTE_PGM_RSRC2:TRAP_HANDLER: 0
; COMPUTE_PGM_RSRC2:TGID_X_EN: 1
; COMPUTE_PGM_RSRC2:TGID_Y_EN: 0
; COMPUTE_PGM_RSRC2:TGID_Z_EN: 1
; COMPUTE_PGM_RSRC2:TIDIG_COMP_CNT: 0
	.text
	.protected	Transform_I8_S_001_16_16_VW_4 ; -- Begin function Transform_I8_S_001_16_16_VW_4
	.globl	Transform_I8_S_001_16_16_VW_4
	.p2align	8
	.type	Transform_I8_S_001_16_16_VW_4,@function
Transform_I8_S_001_16_16_VW_4:          ; @Transform_I8_S_001_16_16_VW_4
; %bb.0:
	s_mov_b64 s[26:27], s[4:5]
	s_load_dword s4, s[6:7], 0x64
	s_add_u32 flat_scratch_lo, s8, s12
	s_addc_u32 flat_scratch_hi, s9, 0
	s_add_u32 s0, s0, s12
	s_addc_u32 s1, s1, 0
	s_waitcnt lgkmcnt(0)
	s_and_b32 s4, s4, 0xffff
	s_mov_b32 s35, s11
	s_mov_b32 s34, s10
	s_mov_b64 s[28:29], s[6:7]
	v_mov_b32_e32 v41, v2
	v_mov_b32_e32 v42, v1
	;; [unrolled: 1-line block ×3, first 2 shown]
	s_cmpk_eq_i32 s4, 0x100
	s_mov_b64 s[4:5], -1
	s_mov_b32 s32, 0
	s_cbranch_scc1 .LBB79_2
; %bb.1:
	s_add_u32 s8, s28, 0x58
	s_addc_u32 s9, s29, 0
	s_getpc_b64 s[4:5]
	s_add_u32 s4, s4, __PRETTY_FUNCTION__._ZN10amd_detail9transformIafLb0ELb0ELb1ELj16ELj16ELj4EEEvPT_PKS1_S4_T0_PKS5_S5_S7_jjjjjjbb@rel32@lo+4
	s_addc_u32 s5, s5, __PRETTY_FUNCTION__._ZN10amd_detail9transformIafLb0ELb0ELb1ELj16ELj16ELj4EEEvPT_PKS1_S4_T0_PKS5_S5_S7_jjjjjjbb@rel32@hi+12
	s_getpc_b64 s[6:7]
	s_add_u32 s6, s6, __assert_fail@rel32@lo+4
	s_addc_u32 s7, s7, __assert_fail@rel32@hi+12
	v_mov_b32_e32 v0, s4
	v_mov_b32_e32 v1, s5
	s_swappc_b64 s[30:31], s[6:7]
	s_mov_b64 s[4:5], 0
	; divergent unreachable
.LBB79_2:
	s_andn2_b64 vcc, exec, s[4:5]
	s_cbranch_vccnz .LBB79_54
; %bb.3:
	s_load_dwordx4 s[12:15], s[28:29], 0x38
	s_waitcnt lgkmcnt(0)
	s_lshr_b32 s6, s12, 4
	s_and_b32 s4, s12, 15
	s_cmp_lg_u32 s4, 0
	s_cselect_b64 s[4:5], -1, 0
	s_cmp_lg_u64 s[4:5], 0
	s_addc_u32 s6, s6, 0
	v_cvt_f32_u32_e32 v0, s6
	s_load_dword s8, s[28:29], 0x18
	s_load_dwordx2 s[4:5], s[28:29], 0x20
	s_sub_i32 s7, 0, s6
	v_rcp_iflag_f32_e32 v0, v0
	s_waitcnt lgkmcnt(0)
	v_mov_b32_e32 v11, s8
	v_mul_f32_e32 v0, 0x4f7ffffe, v0
	v_cvt_u32_f32_e32 v0, v0
	v_readfirstlane_b32 s9, v0
	s_mul_i32 s7, s7, s9
	s_mul_hi_u32 s7, s9, s7
	s_add_i32 s9, s9, s7
	s_mul_hi_u32 s7, s34, s9
	s_cmp_eq_u64 s[4:5], 0
	s_cbranch_scc1 .LBB79_5
; %bb.4:
	v_mov_b32_e32 v0, 0
	global_load_dword v11, v0, s[4:5]
.LBB79_5:
	s_load_dwordx2 s[4:5], s[28:29], 0x30
	s_load_dword s8, s[28:29], 0x28
	s_waitcnt lgkmcnt(0)
	s_cmp_eq_u64 s[4:5], 0
	v_mov_b32_e32 v14, s8
	s_cbranch_scc1 .LBB79_7
; %bb.6:
	v_mov_b32_e32 v0, 0
	global_load_dword v14, v0, s[4:5]
.LBB79_7:
	s_mul_i32 s4, s7, s6
	s_sub_i32 s4, s34, s4
	s_add_i32 s5, s7, 1
	s_sub_i32 s8, s4, s6
	s_cmp_ge_u32 s4, s6
	s_cselect_b32 s5, s5, s7
	s_cselect_b32 s4, s8, s4
	s_add_i32 s7, s5, 1
	s_cmp_ge_u32 s4, s6
	s_cselect_b32 s4, s7, s5
	s_mul_i32 s30, s4, s6
	s_sub_i32 s5, s34, s30
	v_and_b32_e32 v8, 15, v43
	v_lshl_or_b32 v0, s5, 4, v8
	v_cmp_gt_u32_e32 vcc, s12, v0
	s_and_saveexec_b64 s[6:7], vcc
	s_cbranch_execz .LBB79_54
; %bb.8:
	v_lshrrev_b32_e32 v1, 2, v43
	s_lshl_b32 s12, s4, 6
	v_and_b32_e32 v10, 0xfc, v1
	s_load_dwordx4 s[20:23], s[28:29], 0x48
	v_add_u32_e32 v9, s12, v10
	v_add_u32_e32 v12, 4, v9
	v_sub_u32_e64 v13, v12, s13 clamp
	s_load_dwordx4 s[16:19], s[28:29], 0x0
	s_load_dwordx2 s[24:25], s[28:29], 0x10
	v_sub_u32_e32 v4, v9, v13
	v_mad_u64_u32 v[1:2], s[4:5], v0, s14, v[4:5]
	s_waitcnt lgkmcnt(0)
	s_bitcmp1_b32 s22, 0
	s_cselect_b64 vcc, -1, 0
	s_cmp_lg_u64 s[18:19], 0
	s_mul_i32 s21, s21, s35
	s_cselect_b64 s[10:11], -1, 0
	s_cmp_eq_u64 s[18:19], 0
	v_mov_b32_e32 v16, 0
	v_mov_b32_e32 v15, 0
	s_cbranch_scc1 .LBB79_10
; %bb.9:
	v_mad_u64_u32 v[2:3], s[4:5], v4, s14, v[0:1]
	v_cndmask_b32_e32 v2, v2, v1, vcc
	v_add_u32_e32 v2, s21, v2
	global_load_sbyte v2, v2, s[18:19]
	s_waitcnt vmcnt(0)
	v_cvt_f32_i32_e32 v15, v2
.LBB79_10:
	s_load_dword s6, s[28:29], 0x50
	s_xor_b64 s[8:9], vcc, -1
	v_mad_u64_u32 v[2:3], s[4:5], v0, s15, v[4:5]
	s_waitcnt lgkmcnt(0)
	s_bitcmp1_b32 s6, 8
	s_cselect_b64 s[6:7], -1, 0
	s_cmp_lg_u64 s[24:25], 0
	s_cselect_b64 s[22:23], -1, 0
	s_cmp_eq_u64 s[24:25], 0
	s_cbranch_scc1 .LBB79_12
; %bb.11:
	v_mad_u64_u32 v[5:6], s[4:5], v4, s15, v[0:1]
	v_cndmask_b32_e64 v3, v5, v2, s[6:7]
	v_add_u32_e32 v3, s21, v3
	global_load_sbyte v3, v3, s[24:25]
	s_waitcnt vmcnt(0)
	v_cvt_f32_i32_e32 v16, v3
.LBB79_12:
	v_cndmask_b32_e64 v3, 0, 1, s[8:9]
	v_cmp_ne_u32_e64 s[4:5], 1, v3
	s_andn2_b64 vcc, exec, s[8:9]
	s_cbranch_vccnz .LBB79_14
; %bb.13:
	v_mul_lo_u32 v3, s14, v4
	v_add3_u32 v3, v3, s14, v0
	s_xor_b64 s[8:9], s[6:7], -1
	s_cbranch_execz .LBB79_15
	s_branch .LBB79_16
.LBB79_14:
                                        ; implicit-def: $vgpr3
	s_xor_b64 s[8:9], s[6:7], -1
.LBB79_15:
	v_add_u32_e32 v3, 1, v1
.LBB79_16:
	v_cndmask_b32_e64 v5, 0, 1, s[8:9]
	v_cmp_ne_u32_e64 s[6:7], 1, v5
	s_andn2_b64 vcc, exec, s[8:9]
	s_cbranch_vccnz .LBB79_18
; %bb.17:
	v_mul_lo_u32 v5, s15, v4
	v_add3_u32 v5, v5, s15, v0
	s_cbranch_execz .LBB79_19
	s_branch .LBB79_20
.LBB79_18:
                                        ; implicit-def: $vgpr5
.LBB79_19:
	v_add_u32_e32 v5, 1, v2
.LBB79_20:
	v_cndmask_b32_e64 v6, 0, 1, s[10:11]
	v_mov_b32_e32 v18, 0
	v_cmp_ne_u32_e64 s[8:9], 1, v6
	s_andn2_b64 vcc, exec, s[10:11]
	v_mov_b32_e32 v17, 0
	s_cbranch_vccnz .LBB79_22
; %bb.21:
	v_add_u32_e32 v3, s21, v3
	global_load_sbyte v3, v3, s[18:19]
	s_waitcnt vmcnt(0)
	v_cvt_f32_i32_e32 v17, v3
.LBB79_22:
	v_cndmask_b32_e64 v3, 0, 1, s[22:23]
	v_cmp_ne_u32_e64 s[10:11], 1, v3
	s_andn2_b64 vcc, exec, s[22:23]
	s_cbranch_vccnz .LBB79_24
; %bb.23:
	v_add_u32_e32 v3, s21, v5
	global_load_sbyte v3, v3, s[24:25]
	s_waitcnt vmcnt(0)
	v_cvt_f32_i32_e32 v18, v3
.LBB79_24:
	s_and_b64 vcc, exec, s[4:5]
	v_add_u32_e32 v3, 2, v4
	s_cbranch_vccnz .LBB79_26
; %bb.25:
	v_mad_u64_u32 v[5:6], s[22:23], v3, s14, v[0:1]
	s_cbranch_execz .LBB79_27
	s_branch .LBB79_28
.LBB79_26:
                                        ; implicit-def: $vgpr5
.LBB79_27:
	v_add_u32_e32 v5, 2, v1
.LBB79_28:
	s_and_b64 vcc, exec, s[6:7]
	s_cbranch_vccnz .LBB79_30
; %bb.29:
	v_mad_u64_u32 v[6:7], s[22:23], v3, s15, v[0:1]
	s_cbranch_execz .LBB79_31
	s_branch .LBB79_32
.LBB79_30:
                                        ; implicit-def: $vgpr6
.LBB79_31:
	v_add_u32_e32 v6, 2, v2
.LBB79_32:
	v_mov_b32_e32 v19, 0
	s_and_b64 vcc, exec, s[8:9]
	v_mov_b32_e32 v7, 0
	s_cbranch_vccnz .LBB79_34
; %bb.33:
	v_add_u32_e32 v3, s21, v5
	global_load_sbyte v3, v3, s[18:19]
	s_waitcnt vmcnt(0)
	v_cvt_f32_i32_e32 v7, v3
.LBB79_34:
	s_and_b64 vcc, exec, s[10:11]
	s_cbranch_vccnz .LBB79_36
; %bb.35:
	v_add_u32_e32 v3, s21, v6
	global_load_sbyte v3, v3, s[24:25]
	s_waitcnt vmcnt(0)
	v_cvt_f32_i32_e32 v19, v3
.LBB79_36:
	s_and_b64 vcc, exec, s[4:5]
	v_add_u32_e32 v5, 3, v4
	s_cbranch_vccnz .LBB79_38
; %bb.37:
	v_mad_u64_u32 v[3:4], s[4:5], v5, s14, v[0:1]
	s_cbranch_execz .LBB79_39
	s_branch .LBB79_40
.LBB79_38:
                                        ; implicit-def: $vgpr3
.LBB79_39:
	v_add_u32_e32 v3, 3, v1
.LBB79_40:
	s_and_b64 vcc, exec, s[6:7]
	s_cbranch_vccnz .LBB79_42
; %bb.41:
	v_mad_u64_u32 v[4:5], s[4:5], v5, s15, v[0:1]
	s_cbranch_execz .LBB79_43
	s_branch .LBB79_44
.LBB79_42:
                                        ; implicit-def: $vgpr4
.LBB79_43:
	v_add_u32_e32 v4, 3, v2
.LBB79_44:
	v_mov_b32_e32 v5, 0
	s_and_b64 vcc, exec, s[8:9]
	v_mov_b32_e32 v2, 0
	s_cbranch_vccnz .LBB79_46
; %bb.45:
	v_add_u32_e32 v1, s21, v3
	global_load_sbyte v1, v1, s[18:19]
	s_waitcnt vmcnt(0)
	v_cvt_f32_i32_e32 v2, v1
.LBB79_46:
	s_and_b64 vcc, exec, s[10:11]
	s_cbranch_vccnz .LBB79_48
; %bb.47:
	v_add_u32_e32 v1, s21, v4
	global_load_sbyte v1, v1, s[24:25]
	s_waitcnt vmcnt(0)
	v_cvt_f32_i32_e32 v5, v1
.LBB79_48:
	s_load_dwordx2 s[4:5], s[26:27], 0x4
	s_waitcnt vmcnt(0)
	v_mul_f32_e32 v3, v14, v18
	v_mul_f32_e32 v5, v14, v5
	;; [unrolled: 1-line block ×4, first 2 shown]
	s_waitcnt lgkmcnt(0)
	s_lshr_b32 s4, s4, 16
	v_fmac_f32_e32 v3, v11, v17
	v_fmac_f32_e32 v5, v11, v2
	v_fmac_f32_e32 v1, v11, v15
	s_mul_i32 s4, s4, s5
	v_cvt_i32_f32_e32 v3, v3
	v_fmac_f32_e32 v6, v11, v7
	v_cvt_i32_f32_e32 v2, v5
	v_mul_lo_u32 v15, s4, v43
	v_cvt_i32_f32_e32 v4, v1
	v_cvt_i32_f32_e32 v5, v6
	v_lshlrev_b16_e32 v6, 8, v3
	v_lshlrev_b16_e32 v7, 8, v2
	v_mad_u32_u24 v1, v42, s5, v15
	v_or_b32_sdwa v6, v4, v6 dst_sel:DWORD dst_unused:UNUSED_PAD src0_sel:BYTE_0 src1_sel:DWORD
	v_or_b32_sdwa v7, v5, v7 dst_sel:WORD_1 dst_unused:UNUSED_PAD src0_sel:BYTE_0 src1_sel:DWORD
	v_add_lshl_u32 v1, v1, v41, 2
	v_or_b32_sdwa v6, v6, v7 dst_sel:DWORD dst_unused:UNUSED_PAD src0_sel:WORD_0 src1_sel:DWORD
	v_cmp_ge_u32_e32 vcc, s13, v12
	ds_write_b32 v1, v6
	s_and_saveexec_b64 s[4:5], vcc
	s_xor_b64 s[4:5], exec, s[4:5]
	s_cbranch_execz .LBB79_50
; %bb.49:
	v_mul_lo_u32 v0, v0, s20
                                        ; implicit-def: $vgpr12
                                        ; implicit-def: $vgpr8
                                        ; implicit-def: $vgpr10
	v_add3_u32 v0, v9, s21, v0
	v_sub_u32_e32 v0, v0, v13
	global_store_byte v0, v4, s[16:17]
	v_add_u32_e32 v1, 1, v0
	v_add_u32_e32 v4, 2, v0
	;; [unrolled: 1-line block ×3, first 2 shown]
	global_store_byte v1, v3, s[16:17]
	global_store_byte v4, v5, s[16:17]
	global_store_byte v0, v2, s[16:17]
                                        ; implicit-def: $vgpr13
                                        ; implicit-def: $vgpr1
                                        ; implicit-def: $vgpr9
.LBB79_50:
	s_andn2_saveexec_b64 s[4:5], s[4:5]
	s_cbranch_execz .LBB79_54
; %bb.51:
	v_cmp_gt_u32_e32 vcc, 4, v13
	s_and_b64 exec, exec, vcc
	s_cbranch_execz .LBB79_54
; %bb.52:
	v_lshl_or_b32 v2, s34, 4, v8
	s_lshl_b32 s4, s30, 4
	v_subrev_u32_e32 v2, s4, v2
	v_mul_lo_u32 v2, s20, v2
	v_min_u32_e32 v0, s13, v12
	v_sub_u32_e32 v0, v9, v0
	s_add_i32 s12, s12, s21
	v_add_u32_e32 v0, 3, v0
	v_add3_u32 v2, s12, v2, v10
	s_mov_b64 s[4:5], 0
.LBB79_53:                              ; =>This Inner Loop Header: Depth=1
	v_add_u32_e32 v3, v1, v0
	ds_read_u8 v3, v3 offset:1
	v_add_u32_e32 v0, 1, v0
	v_cmp_lt_u32_e32 vcc, 2, v0
	s_or_b64 s[4:5], vcc, s[4:5]
	s_waitcnt lgkmcnt(0)
	global_store_byte v2, v3, s[16:17]
	v_add_u32_e32 v2, 1, v2
	s_andn2_b64 exec, exec, s[4:5]
	s_cbranch_execnz .LBB79_53
.LBB79_54:
	s_endpgm
	.section	.rodata,"a",@progbits
	.p2align	6, 0x0
	.amdhsa_kernel Transform_I8_S_001_16_16_VW_4
		.amdhsa_group_segment_fixed_size 4096
		.amdhsa_private_segment_fixed_size 64
		.amdhsa_kernarg_size 344
		.amdhsa_user_sgpr_count 10
		.amdhsa_user_sgpr_private_segment_buffer 1
		.amdhsa_user_sgpr_dispatch_ptr 1
		.amdhsa_user_sgpr_queue_ptr 0
		.amdhsa_user_sgpr_kernarg_segment_ptr 1
		.amdhsa_user_sgpr_dispatch_id 0
		.amdhsa_user_sgpr_flat_scratch_init 1
		.amdhsa_user_sgpr_private_segment_size 0
		.amdhsa_uses_dynamic_stack 0
		.amdhsa_system_sgpr_private_segment_wavefront_offset 1
		.amdhsa_system_sgpr_workgroup_id_x 1
		.amdhsa_system_sgpr_workgroup_id_y 0
		.amdhsa_system_sgpr_workgroup_id_z 1
		.amdhsa_system_sgpr_workgroup_info 0
		.amdhsa_system_vgpr_workitem_id 2
		.amdhsa_next_free_vgpr 44
		.amdhsa_next_free_sgpr 36
		.amdhsa_reserve_vcc 1
		.amdhsa_reserve_flat_scratch 1
		.amdhsa_float_round_mode_32 0
		.amdhsa_float_round_mode_16_64 0
		.amdhsa_float_denorm_mode_32 3
		.amdhsa_float_denorm_mode_16_64 3
		.amdhsa_dx10_clamp 1
		.amdhsa_ieee_mode 1
		.amdhsa_fp16_overflow 0
		.amdhsa_exception_fp_ieee_invalid_op 0
		.amdhsa_exception_fp_denorm_src 0
		.amdhsa_exception_fp_ieee_div_zero 0
		.amdhsa_exception_fp_ieee_overflow 0
		.amdhsa_exception_fp_ieee_underflow 0
		.amdhsa_exception_fp_ieee_inexact 0
		.amdhsa_exception_int_div_zero 0
	.end_amdhsa_kernel
	.text
.Lfunc_end79:
	.size	Transform_I8_S_001_16_16_VW_4, .Lfunc_end79-Transform_I8_S_001_16_16_VW_4
                                        ; -- End function
	.set Transform_I8_S_001_16_16_VW_4.num_vgpr, max(44, .L__assert_fail.num_vgpr)
	.set Transform_I8_S_001_16_16_VW_4.num_agpr, max(0, .L__assert_fail.num_agpr)
	.set Transform_I8_S_001_16_16_VW_4.numbered_sgpr, max(36, .L__assert_fail.numbered_sgpr)
	.set Transform_I8_S_001_16_16_VW_4.num_named_barrier, max(0, .L__assert_fail.num_named_barrier)
	.set Transform_I8_S_001_16_16_VW_4.private_seg_size, 0+max(.L__assert_fail.private_seg_size)
	.set Transform_I8_S_001_16_16_VW_4.uses_vcc, or(1, .L__assert_fail.uses_vcc)
	.set Transform_I8_S_001_16_16_VW_4.uses_flat_scratch, or(1, .L__assert_fail.uses_flat_scratch)
	.set Transform_I8_S_001_16_16_VW_4.has_dyn_sized_stack, or(0, .L__assert_fail.has_dyn_sized_stack)
	.set Transform_I8_S_001_16_16_VW_4.has_recursion, or(0, .L__assert_fail.has_recursion)
	.set Transform_I8_S_001_16_16_VW_4.has_indirect_call, or(0, .L__assert_fail.has_indirect_call)
	.section	.AMDGPU.csdata,"",@progbits
; Kernel info:
; codeLenInByte = 1416
; TotalNumSgprs: 42
; NumVgprs: 44
; ScratchSize: 64
; MemoryBound: 0
; FloatMode: 240
; IeeeMode: 1
; LDSByteSize: 4096 bytes/workgroup (compile time only)
; SGPRBlocks: 5
; VGPRBlocks: 10
; NumSGPRsForWavesPerEU: 42
; NumVGPRsForWavesPerEU: 44
; Occupancy: 5
; WaveLimiterHint : 1
; COMPUTE_PGM_RSRC2:SCRATCH_EN: 1
; COMPUTE_PGM_RSRC2:USER_SGPR: 10
; COMPUTE_PGM_RSRC2:TRAP_HANDLER: 0
; COMPUTE_PGM_RSRC2:TGID_X_EN: 1
; COMPUTE_PGM_RSRC2:TGID_Y_EN: 0
; COMPUTE_PGM_RSRC2:TGID_Z_EN: 1
; COMPUTE_PGM_RSRC2:TIDIG_COMP_CNT: 2
	.text
	.protected	Transform_I8_S_000_16_16_VW_1 ; -- Begin function Transform_I8_S_000_16_16_VW_1
	.globl	Transform_I8_S_000_16_16_VW_1
	.p2align	8
	.type	Transform_I8_S_000_16_16_VW_1,@function
Transform_I8_S_000_16_16_VW_1:          ; @Transform_I8_S_000_16_16_VW_1
; %bb.0:
	s_mov_b64 s[26:27], s[4:5]
	s_load_dword s4, s[4:5], 0x64
	s_add_u32 flat_scratch_lo, s6, s10
	s_addc_u32 flat_scratch_hi, s7, 0
	s_add_u32 s0, s0, s10
	s_addc_u32 s1, s1, 0
	s_waitcnt lgkmcnt(0)
	s_and_b32 s4, s4, 0xffff
	s_mov_b32 s28, s9
	s_mov_b32 s29, s8
	v_mov_b32_e32 v41, v0
	s_cmpk_eq_i32 s4, 0x100
	s_mov_b64 s[4:5], -1
	s_mov_b32 s32, 0
	s_cbranch_scc1 .LBB80_2
; %bb.1:
	s_add_u32 s8, s26, 0x58
	s_addc_u32 s9, s27, 0
	s_getpc_b64 s[4:5]
	s_add_u32 s4, s4, __PRETTY_FUNCTION__._ZN10amd_detail9transformIafLb0ELb0ELb0ELj16ELj16ELj1EEEvPT_PKS1_S4_T0_PKS5_S5_S7_jjjjjjbb@rel32@lo+4
	s_addc_u32 s5, s5, __PRETTY_FUNCTION__._ZN10amd_detail9transformIafLb0ELb0ELb0ELj16ELj16ELj1EEEvPT_PKS1_S4_T0_PKS5_S5_S7_jjjjjjbb@rel32@hi+12
	s_getpc_b64 s[6:7]
	s_add_u32 s6, s6, __assert_fail@rel32@lo+4
	s_addc_u32 s7, s7, __assert_fail@rel32@hi+12
	v_mov_b32_e32 v0, s4
	v_mov_b32_e32 v1, s5
	s_swappc_b64 s[30:31], s[6:7]
	s_mov_b64 s[4:5], 0
	; divergent unreachable
.LBB80_2:
	s_andn2_b64 vcc, exec, s[4:5]
	s_cbranch_vccnz .LBB80_13
; %bb.3:
	s_load_dwordx8 s[4:11], s[26:27], 0x38
	s_waitcnt lgkmcnt(0)
	s_lshr_b32 s11, s4, 4
	s_and_b32 s12, s4, 15
	s_cmp_lg_u32 s12, 0
	s_cselect_b64 s[12:13], -1, 0
	s_cmp_lg_u64 s[12:13], 0
	s_addc_u32 s11, s11, 0
	v_cvt_f32_u32_e32 v0, s11
	s_load_dword s15, s[26:27], 0x18
	s_load_dwordx2 s[12:13], s[26:27], 0x20
	s_sub_i32 s14, 0, s11
	v_rcp_iflag_f32_e32 v0, v0
	v_mul_f32_e32 v0, 0x4f7ffffe, v0
	v_cvt_u32_f32_e32 v0, v0
	v_readfirstlane_b32 s16, v0
	s_mul_i32 s14, s14, s16
	s_mul_hi_u32 s14, s16, s14
	s_add_i32 s16, s16, s14
	s_mul_hi_u32 s14, s29, s16
	s_waitcnt lgkmcnt(0)
	s_cmp_eq_u64 s[12:13], 0
	v_mov_b32_e32 v0, s15
	s_cbranch_scc1 .LBB80_5
; %bb.4:
	v_mov_b32_e32 v0, 0
	global_load_dword v0, v0, s[12:13]
.LBB80_5:
	s_load_dwordx2 s[12:13], s[26:27], 0x30
	s_load_dword s15, s[26:27], 0x28
	s_waitcnt lgkmcnt(0)
	s_cmp_eq_u64 s[12:13], 0
	v_mov_b32_e32 v1, s15
	s_cbranch_scc1 .LBB80_7
; %bb.6:
	v_mov_b32_e32 v1, 0
	global_load_dword v1, v1, s[12:13]
.LBB80_7:
	s_mul_i32 s12, s14, s11
	s_sub_i32 s12, s29, s12
	s_add_i32 s13, s14, 1
	s_sub_i32 s15, s12, s11
	s_cmp_ge_u32 s12, s11
	s_cselect_b32 s13, s13, s14
	s_cselect_b32 s12, s15, s12
	s_add_i32 s14, s13, 1
	s_cmp_ge_u32 s12, s11
	s_cselect_b32 s12, s14, s13
	s_mul_i32 s11, s12, s11
	s_sub_i32 s11, s29, s11
	v_and_b32_e32 v2, 15, v41
	v_lshrrev_b32_e32 v3, 4, v41
	v_lshl_or_b32 v2, s11, 4, v2
	v_lshl_add_u32 v3, s12, 4, v3
	v_cmp_gt_u32_e32 vcc, s4, v2
	v_cmp_gt_u32_e64 s[4:5], s5, v3
	s_and_b64 s[4:5], vcc, s[4:5]
	s_and_saveexec_b64 s[12:13], s[4:5]
	s_cbranch_execz .LBB80_13
; %bb.8:
	s_load_dwordx4 s[12:15], s[26:27], 0x0
	s_load_dwordx2 s[4:5], s[26:27], 0x10
	s_mul_i32 s9, s9, s28
	v_mov_b32_e32 v5, 0
	v_mov_b32_e32 v4, 0
	s_waitcnt lgkmcnt(0)
	s_cmp_eq_u64 s[14:15], 0
	s_cbranch_scc1 .LBB80_10
; %bb.9:
	s_bitcmp1_b32 s10, 0
	s_cselect_b64 vcc, -1, 0
	v_cndmask_b32_e32 v4, v3, v2, vcc
	v_mul_lo_u32 v4, v4, s6
	v_cndmask_b32_e32 v6, v2, v3, vcc
	v_add3_u32 v4, v6, s9, v4
	global_load_sbyte v4, v4, s[14:15]
	s_waitcnt vmcnt(0)
	v_cvt_f32_i32_e32 v4, v4
.LBB80_10:
	s_cmp_eq_u64 s[4:5], 0
	s_cbranch_scc1 .LBB80_12
; %bb.11:
	s_load_dword s6, s[26:27], 0x50
	s_waitcnt lgkmcnt(0)
	s_bitcmp1_b32 s6, 8
	s_cselect_b64 vcc, -1, 0
	v_cndmask_b32_e32 v5, v3, v2, vcc
	v_mul_lo_u32 v5, v5, s7
	v_cndmask_b32_e32 v6, v2, v3, vcc
	v_add3_u32 v5, v6, s9, v5
	global_load_sbyte v5, v5, s[4:5]
	s_waitcnt vmcnt(0)
	v_cvt_f32_i32_e32 v5, v5
.LBB80_12:
	s_waitcnt vmcnt(0)
	v_mul_f32_e32 v1, v1, v5
	v_fmac_f32_e32 v1, v0, v4
	v_mul_lo_u32 v0, v3, s8
	v_cvt_i32_f32_e32 v1, v1
	v_add3_u32 v0, v2, s9, v0
	global_store_byte v0, v1, s[12:13]
.LBB80_13:
	s_endpgm
	.section	.rodata,"a",@progbits
	.p2align	6, 0x0
	.amdhsa_kernel Transform_I8_S_000_16_16_VW_1
		.amdhsa_group_segment_fixed_size 0
		.amdhsa_private_segment_fixed_size 64
		.amdhsa_kernarg_size 344
		.amdhsa_user_sgpr_count 8
		.amdhsa_user_sgpr_private_segment_buffer 1
		.amdhsa_user_sgpr_dispatch_ptr 0
		.amdhsa_user_sgpr_queue_ptr 0
		.amdhsa_user_sgpr_kernarg_segment_ptr 1
		.amdhsa_user_sgpr_dispatch_id 0
		.amdhsa_user_sgpr_flat_scratch_init 1
		.amdhsa_user_sgpr_private_segment_size 0
		.amdhsa_uses_dynamic_stack 0
		.amdhsa_system_sgpr_private_segment_wavefront_offset 1
		.amdhsa_system_sgpr_workgroup_id_x 1
		.amdhsa_system_sgpr_workgroup_id_y 0
		.amdhsa_system_sgpr_workgroup_id_z 1
		.amdhsa_system_sgpr_workgroup_info 0
		.amdhsa_system_vgpr_workitem_id 0
		.amdhsa_next_free_vgpr 42
		.amdhsa_next_free_sgpr 34
		.amdhsa_reserve_vcc 1
		.amdhsa_reserve_flat_scratch 1
		.amdhsa_float_round_mode_32 0
		.amdhsa_float_round_mode_16_64 0
		.amdhsa_float_denorm_mode_32 3
		.amdhsa_float_denorm_mode_16_64 3
		.amdhsa_dx10_clamp 1
		.amdhsa_ieee_mode 1
		.amdhsa_fp16_overflow 0
		.amdhsa_exception_fp_ieee_invalid_op 0
		.amdhsa_exception_fp_denorm_src 0
		.amdhsa_exception_fp_ieee_div_zero 0
		.amdhsa_exception_fp_ieee_overflow 0
		.amdhsa_exception_fp_ieee_underflow 0
		.amdhsa_exception_fp_ieee_inexact 0
		.amdhsa_exception_int_div_zero 0
	.end_amdhsa_kernel
	.text
.Lfunc_end80:
	.size	Transform_I8_S_000_16_16_VW_1, .Lfunc_end80-Transform_I8_S_000_16_16_VW_1
                                        ; -- End function
	.set Transform_I8_S_000_16_16_VW_1.num_vgpr, max(42, .L__assert_fail.num_vgpr)
	.set Transform_I8_S_000_16_16_VW_1.num_agpr, max(0, .L__assert_fail.num_agpr)
	.set Transform_I8_S_000_16_16_VW_1.numbered_sgpr, max(33, .L__assert_fail.numbered_sgpr)
	.set Transform_I8_S_000_16_16_VW_1.num_named_barrier, max(0, .L__assert_fail.num_named_barrier)
	.set Transform_I8_S_000_16_16_VW_1.private_seg_size, 0+max(.L__assert_fail.private_seg_size)
	.set Transform_I8_S_000_16_16_VW_1.uses_vcc, or(1, .L__assert_fail.uses_vcc)
	.set Transform_I8_S_000_16_16_VW_1.uses_flat_scratch, or(1, .L__assert_fail.uses_flat_scratch)
	.set Transform_I8_S_000_16_16_VW_1.has_dyn_sized_stack, or(0, .L__assert_fail.has_dyn_sized_stack)
	.set Transform_I8_S_000_16_16_VW_1.has_recursion, or(0, .L__assert_fail.has_recursion)
	.set Transform_I8_S_000_16_16_VW_1.has_indirect_call, or(0, .L__assert_fail.has_indirect_call)
	.section	.AMDGPU.csdata,"",@progbits
; Kernel info:
; codeLenInByte = 608
; TotalNumSgprs: 40
; NumVgprs: 42
; ScratchSize: 64
; MemoryBound: 0
; FloatMode: 240
; IeeeMode: 1
; LDSByteSize: 0 bytes/workgroup (compile time only)
; SGPRBlocks: 4
; VGPRBlocks: 10
; NumSGPRsForWavesPerEU: 40
; NumVGPRsForWavesPerEU: 42
; Occupancy: 5
; WaveLimiterHint : 1
; COMPUTE_PGM_RSRC2:SCRATCH_EN: 1
; COMPUTE_PGM_RSRC2:USER_SGPR: 8
; COMPUTE_PGM_RSRC2:TRAP_HANDLER: 0
; COMPUTE_PGM_RSRC2:TGID_X_EN: 1
; COMPUTE_PGM_RSRC2:TGID_Y_EN: 0
; COMPUTE_PGM_RSRC2:TGID_Z_EN: 1
; COMPUTE_PGM_RSRC2:TIDIG_COMP_CNT: 0
	.text
	.protected	Transform_I8_S_000_16_16_VW_4 ; -- Begin function Transform_I8_S_000_16_16_VW_4
	.globl	Transform_I8_S_000_16_16_VW_4
	.p2align	8
	.type	Transform_I8_S_000_16_16_VW_4,@function
Transform_I8_S_000_16_16_VW_4:          ; @Transform_I8_S_000_16_16_VW_4
; %bb.0:
	s_mov_b64 s[26:27], s[4:5]
	s_load_dword s4, s[6:7], 0x64
	s_add_u32 flat_scratch_lo, s8, s12
	s_addc_u32 flat_scratch_hi, s9, 0
	s_add_u32 s0, s0, s12
	s_addc_u32 s1, s1, 0
	s_waitcnt lgkmcnt(0)
	s_and_b32 s4, s4, 0xffff
	s_mov_b32 s35, s11
	s_mov_b32 s34, s10
	s_mov_b64 s[28:29], s[6:7]
	v_mov_b32_e32 v41, v2
	v_mov_b32_e32 v42, v1
	v_mov_b32_e32 v43, v0
	s_cmpk_eq_i32 s4, 0x100
	s_mov_b64 s[4:5], -1
	s_mov_b32 s32, 0
	s_cbranch_scc1 .LBB81_2
; %bb.1:
	s_add_u32 s8, s28, 0x58
	s_addc_u32 s9, s29, 0
	s_getpc_b64 s[4:5]
	s_add_u32 s4, s4, __PRETTY_FUNCTION__._ZN10amd_detail9transformIafLb0ELb0ELb0ELj16ELj16ELj4EEEvPT_PKS1_S4_T0_PKS5_S5_S7_jjjjjjbb@rel32@lo+4
	s_addc_u32 s5, s5, __PRETTY_FUNCTION__._ZN10amd_detail9transformIafLb0ELb0ELb0ELj16ELj16ELj4EEEvPT_PKS1_S4_T0_PKS5_S5_S7_jjjjjjbb@rel32@hi+12
	s_getpc_b64 s[6:7]
	s_add_u32 s6, s6, __assert_fail@rel32@lo+4
	s_addc_u32 s7, s7, __assert_fail@rel32@hi+12
	v_mov_b32_e32 v0, s4
	v_mov_b32_e32 v1, s5
	s_swappc_b64 s[30:31], s[6:7]
	s_mov_b64 s[4:5], 0
	; divergent unreachable
.LBB81_2:
	s_andn2_b64 vcc, exec, s[4:5]
	s_cbranch_vccnz .LBB81_54
; %bb.3:
	s_load_dwordx8 s[12:19], s[28:29], 0x38
	s_waitcnt lgkmcnt(0)
	s_lshr_b32 s6, s12, 6
	s_and_b32 s4, s12, 63
	s_cmp_lg_u32 s4, 0
	s_cselect_b64 s[4:5], -1, 0
	s_cmp_lg_u64 s[4:5], 0
	s_addc_u32 s6, s6, 0
	v_cvt_f32_u32_e32 v0, s6
	s_load_dword s8, s[28:29], 0x18
	s_load_dwordx2 s[4:5], s[28:29], 0x20
	s_sub_i32 s7, 0, s6
	v_rcp_iflag_f32_e32 v0, v0
	s_waitcnt lgkmcnt(0)
	v_mov_b32_e32 v7, s8
	v_mul_f32_e32 v0, 0x4f7ffffe, v0
	v_cvt_u32_f32_e32 v0, v0
	v_readfirstlane_b32 s9, v0
	s_mul_i32 s7, s7, s9
	s_mul_hi_u32 s7, s9, s7
	s_add_i32 s9, s9, s7
	s_mul_hi_u32 s7, s34, s9
	s_cmp_eq_u64 s[4:5], 0
	s_cbranch_scc1 .LBB81_5
; %bb.4:
	v_mov_b32_e32 v0, 0
	global_load_dword v7, v0, s[4:5]
.LBB81_5:
	s_load_dwordx2 s[4:5], s[28:29], 0x30
	s_load_dword s8, s[28:29], 0x28
	s_waitcnt lgkmcnt(0)
	s_cmp_eq_u64 s[4:5], 0
	v_mov_b32_e32 v10, s8
	s_cbranch_scc1 .LBB81_7
; %bb.6:
	v_mov_b32_e32 v0, 0
	global_load_dword v10, v0, s[4:5]
.LBB81_7:
	s_mul_i32 s4, s7, s6
	s_sub_i32 s4, s34, s4
	s_add_i32 s5, s7, 1
	s_sub_i32 s8, s4, s6
	s_cmp_ge_u32 s4, s6
	s_cselect_b32 s5, s5, s7
	s_cselect_b32 s4, s8, s4
	s_add_i32 s7, s5, 1
	s_cmp_ge_u32 s4, s6
	s_cselect_b32 s30, s7, s5
	v_lshrrev_b32_e32 v0, 4, v43
	v_lshl_add_u32 v0, s30, 4, v0
	v_cmp_gt_u32_e32 vcc, s13, v0
	s_and_saveexec_b64 s[4:5], vcc
	s_cbranch_execz .LBB81_54
; %bb.8:
	s_mul_i32 s30, s30, s6
	v_lshlrev_b32_e32 v1, 2, v43
	s_sub_i32 s4, s34, s30
	v_and_b32_e32 v8, 60, v1
	v_lshl_or_b32 v11, s4, 6, v8
	v_add_u32_e32 v12, 4, v11
	s_load_dwordx4 s[20:23], s[28:29], 0x0
	s_load_dwordx2 s[24:25], s[28:29], 0x10
	v_sub_u32_e64 v9, v12, s12 clamp
	v_sub_u32_e32 v1, v11, v9
	v_mad_u64_u32 v[4:5], s[4:5], v0, s14, v[1:2]
	s_bitcmp1_b32 s18, 0
	s_cselect_b64 vcc, -1, 0
	s_waitcnt lgkmcnt(0)
	s_cmp_lg_u64 s[22:23], 0
	s_mul_i32 s13, s17, s35
	s_cselect_b64 s[10:11], -1, 0
	s_cmp_eq_u64 s[22:23], 0
	v_mov_b32_e32 v14, 0
	v_mov_b32_e32 v13, 0
	s_cbranch_scc1 .LBB81_10
; %bb.9:
	v_mad_u64_u32 v[2:3], s[4:5], v1, s14, v[0:1]
	v_cndmask_b32_e32 v2, v4, v2, vcc
	v_add_u32_e32 v2, s13, v2
	global_load_sbyte v2, v2, s[22:23]
	s_waitcnt vmcnt(0)
	v_cvt_f32_i32_e32 v13, v2
.LBB81_10:
	s_load_dword s6, s[28:29], 0x50
	s_xor_b64 s[8:9], vcc, -1
	v_mad_u64_u32 v[2:3], s[4:5], v0, s15, v[1:2]
	v_mul_lo_u32 v15, v1, s15
	s_waitcnt lgkmcnt(0)
	s_bitcmp1_b32 s6, 8
	s_cselect_b64 s[6:7], -1, 0
	s_cmp_lg_u64 s[24:25], 0
	s_cselect_b64 s[18:19], -1, 0
	s_cmp_eq_u64 s[24:25], 0
	s_cbranch_scc1 .LBB81_12
; %bb.11:
	v_add_u32_e32 v3, v15, v0
	v_cndmask_b32_e64 v3, v2, v3, s[6:7]
	v_add_u32_e32 v3, s13, v3
	global_load_sbyte v3, v3, s[24:25]
	s_waitcnt vmcnt(0)
	v_cvt_f32_i32_e32 v14, v3
.LBB81_12:
	v_cndmask_b32_e64 v3, 0, 1, s[8:9]
	v_cmp_ne_u32_e64 s[4:5], 1, v3
	s_andn2_b64 vcc, exec, s[8:9]
	s_cbranch_vccnz .LBB81_14
; %bb.13:
	v_add_u32_e32 v3, 1, v4
	s_xor_b64 s[8:9], s[6:7], -1
	s_cbranch_execz .LBB81_15
	s_branch .LBB81_16
.LBB81_14:
                                        ; implicit-def: $vgpr3
	s_xor_b64 s[8:9], s[6:7], -1
.LBB81_15:
	v_mul_lo_u32 v3, s14, v1
	v_add3_u32 v3, v3, s14, v0
.LBB81_16:
	v_cndmask_b32_e64 v5, 0, 1, s[8:9]
	v_cmp_ne_u32_e64 s[6:7], 1, v5
	s_andn2_b64 vcc, exec, s[8:9]
	s_cbranch_vccnz .LBB81_18
; %bb.17:
	v_add_u32_e32 v5, 1, v2
	s_cbranch_execz .LBB81_19
	s_branch .LBB81_20
.LBB81_18:
                                        ; implicit-def: $vgpr5
.LBB81_19:
	v_add3_u32 v5, v15, s15, v0
.LBB81_20:
	v_cndmask_b32_e64 v6, 0, 1, s[10:11]
	v_mov_b32_e32 v17, 0
	v_cmp_ne_u32_e64 s[8:9], 1, v6
	s_andn2_b64 vcc, exec, s[10:11]
	v_mov_b32_e32 v16, 0
	s_cbranch_vccnz .LBB81_22
; %bb.21:
	v_add_u32_e32 v3, s13, v3
	global_load_sbyte v3, v3, s[22:23]
	s_waitcnt vmcnt(0)
	v_cvt_f32_i32_e32 v16, v3
.LBB81_22:
	v_cndmask_b32_e64 v3, 0, 1, s[18:19]
	v_cmp_ne_u32_e64 s[10:11], 1, v3
	s_andn2_b64 vcc, exec, s[18:19]
	s_cbranch_vccnz .LBB81_24
; %bb.23:
	v_add_u32_e32 v3, s13, v5
	global_load_sbyte v3, v3, s[24:25]
	s_waitcnt vmcnt(0)
	v_cvt_f32_i32_e32 v17, v3
.LBB81_24:
	s_and_b64 vcc, exec, s[4:5]
	s_cbranch_vccnz .LBB81_26
; %bb.25:
	v_add_u32_e32 v5, 2, v4
	s_cbranch_execz .LBB81_27
	s_branch .LBB81_28
.LBB81_26:
                                        ; implicit-def: $vgpr5
.LBB81_27:
	v_add_u32_e32 v3, 2, v1
	v_mad_u64_u32 v[5:6], s[18:19], v3, s14, v[0:1]
.LBB81_28:
	s_and_b64 vcc, exec, s[6:7]
	s_cbranch_vccnz .LBB81_30
; %bb.29:
	v_add_u32_e32 v3, 2, v2
	s_cbranch_execz .LBB81_31
	s_branch .LBB81_32
.LBB81_30:
                                        ; implicit-def: $vgpr3
.LBB81_31:
	s_lshl_b32 s17, s15, 1
	v_add3_u32 v3, v15, s17, v0
.LBB81_32:
	v_mov_b32_e32 v18, 0
	s_and_b64 vcc, exec, s[8:9]
	v_mov_b32_e32 v6, 0
	s_cbranch_vccnz .LBB81_34
; %bb.33:
	v_add_u32_e32 v5, s13, v5
	global_load_sbyte v5, v5, s[22:23]
	s_waitcnt vmcnt(0)
	v_cvt_f32_i32_e32 v6, v5
.LBB81_34:
	s_and_b64 vcc, exec, s[10:11]
	s_cbranch_vccnz .LBB81_36
; %bb.35:
	v_add_u32_e32 v3, s13, v3
	global_load_sbyte v3, v3, s[24:25]
	s_waitcnt vmcnt(0)
	v_cvt_f32_i32_e32 v18, v3
.LBB81_36:
	s_and_b64 vcc, exec, s[4:5]
	s_cbranch_vccnz .LBB81_38
; %bb.37:
	v_add_u32_e32 v3, 3, v4
	s_cbranch_execz .LBB81_39
	s_branch .LBB81_40
.LBB81_38:
                                        ; implicit-def: $vgpr3
.LBB81_39:
	v_add_u32_e32 v1, 3, v1
	v_mad_u64_u32 v[3:4], s[4:5], v1, s14, v[0:1]
.LBB81_40:
	s_and_b64 vcc, exec, s[6:7]
	s_cbranch_vccnz .LBB81_42
; %bb.41:
	v_add_u32_e32 v1, 3, v2
	s_cbranch_execz .LBB81_43
	s_branch .LBB81_44
.LBB81_42:
                                        ; implicit-def: $vgpr1
.LBB81_43:
	s_mul_i32 s4, s15, 3
	v_add3_u32 v1, v15, s4, v0
.LBB81_44:
	v_mov_b32_e32 v4, 0
	s_and_b64 vcc, exec, s[8:9]
	v_mov_b32_e32 v2, 0
	s_cbranch_vccnz .LBB81_46
; %bb.45:
	v_add_u32_e32 v2, s13, v3
	global_load_sbyte v2, v2, s[22:23]
	s_waitcnt vmcnt(0)
	v_cvt_f32_i32_e32 v2, v2
.LBB81_46:
	s_and_b64 vcc, exec, s[10:11]
	s_cbranch_vccnz .LBB81_48
; %bb.47:
	v_add_u32_e32 v1, s13, v1
	global_load_sbyte v1, v1, s[24:25]
	s_waitcnt vmcnt(0)
	v_cvt_f32_i32_e32 v4, v1
.LBB81_48:
	s_load_dwordx2 s[4:5], s[26:27], 0x4
	s_waitcnt vmcnt(0)
	v_mul_f32_e32 v3, v10, v17
	v_mul_f32_e32 v4, v10, v4
	;; [unrolled: 1-line block ×4, first 2 shown]
	s_waitcnt lgkmcnt(0)
	s_lshr_b32 s4, s4, 16
	v_fmac_f32_e32 v3, v7, v16
	v_fmac_f32_e32 v4, v7, v2
	;; [unrolled: 1-line block ×3, first 2 shown]
	s_mul_i32 s4, s4, s5
	v_cvt_i32_f32_e32 v3, v3
	v_fmac_f32_e32 v14, v7, v6
	v_cvt_i32_f32_e32 v2, v4
	v_mul_lo_u32 v13, s4, v43
	v_cvt_i32_f32_e32 v5, v1
	v_cvt_i32_f32_e32 v4, v14
	v_mul_lo_u32 v0, v0, s16
	v_lshlrev_b16_e32 v6, 8, v3
	v_lshlrev_b16_e32 v7, 8, v2
	v_mad_u32_u24 v1, v42, s5, v13
	v_or_b32_sdwa v6, v5, v6 dst_sel:DWORD dst_unused:UNUSED_PAD src0_sel:BYTE_0 src1_sel:DWORD
	v_or_b32_sdwa v7, v4, v7 dst_sel:WORD_1 dst_unused:UNUSED_PAD src0_sel:BYTE_0 src1_sel:DWORD
	v_add_lshl_u32 v1, v1, v41, 2
	v_or_b32_sdwa v6, v6, v7 dst_sel:DWORD dst_unused:UNUSED_PAD src0_sel:WORD_0 src1_sel:DWORD
	v_cmp_ge_u32_e32 vcc, s12, v12
	ds_write_b32 v1, v6
	s_and_saveexec_b64 s[4:5], vcc
	s_xor_b64 s[4:5], exec, s[4:5]
	s_cbranch_execz .LBB81_50
; %bb.49:
	v_add_u32_e32 v1, s13, v11
	v_sub_u32_e32 v1, v1, v9
	v_add_u32_e32 v0, v1, v0
	v_add_u32_e32 v1, 1, v0
	global_store_byte v0, v5, s[20:21]
	global_store_byte v1, v3, s[20:21]
	v_add_u32_e32 v1, 2, v0
	v_add_u32_e32 v0, 3, v0
	global_store_byte v1, v4, s[20:21]
	global_store_byte v0, v2, s[20:21]
                                        ; implicit-def: $vgpr9
                                        ; implicit-def: $vgpr1
                                        ; implicit-def: $vgpr8
                                        ; implicit-def: $vgpr0
.LBB81_50:
	s_andn2_saveexec_b64 s[4:5], s[4:5]
	s_cbranch_execz .LBB81_54
; %bb.51:
	v_cmp_gt_u32_e32 vcc, 4, v9
	s_and_b64 exec, exec, vcc
	s_cbranch_execz .LBB81_54
; %bb.52:
	v_lshl_or_b32 v3, s34, 6, v8
	s_lshl_b32 s4, s30, 6
	v_subrev_u32_e32 v2, s4, v3
	v_add_u32_e32 v4, 4, v2
	v_min_u32_e32 v4, s12, v4
	v_sub_u32_e32 v2, v2, v4
	v_add3_u32 v0, s13, v0, v3
	v_add_u32_e32 v2, 3, v2
	v_subrev_u32_e32 v0, s4, v0
	s_mov_b64 s[4:5], 0
.LBB81_53:                              ; =>This Inner Loop Header: Depth=1
	v_add_u32_e32 v3, v1, v2
	ds_read_u8 v3, v3 offset:1
	v_add_u32_e32 v2, 1, v2
	v_cmp_lt_u32_e32 vcc, 2, v2
	s_or_b64 s[4:5], vcc, s[4:5]
	s_waitcnt lgkmcnt(0)
	global_store_byte v0, v3, s[20:21]
	v_add_u32_e32 v0, 1, v0
	s_andn2_b64 exec, exec, s[4:5]
	s_cbranch_execnz .LBB81_53
.LBB81_54:
	s_endpgm
	.section	.rodata,"a",@progbits
	.p2align	6, 0x0
	.amdhsa_kernel Transform_I8_S_000_16_16_VW_4
		.amdhsa_group_segment_fixed_size 4096
		.amdhsa_private_segment_fixed_size 64
		.amdhsa_kernarg_size 344
		.amdhsa_user_sgpr_count 10
		.amdhsa_user_sgpr_private_segment_buffer 1
		.amdhsa_user_sgpr_dispatch_ptr 1
		.amdhsa_user_sgpr_queue_ptr 0
		.amdhsa_user_sgpr_kernarg_segment_ptr 1
		.amdhsa_user_sgpr_dispatch_id 0
		.amdhsa_user_sgpr_flat_scratch_init 1
		.amdhsa_user_sgpr_private_segment_size 0
		.amdhsa_uses_dynamic_stack 0
		.amdhsa_system_sgpr_private_segment_wavefront_offset 1
		.amdhsa_system_sgpr_workgroup_id_x 1
		.amdhsa_system_sgpr_workgroup_id_y 0
		.amdhsa_system_sgpr_workgroup_id_z 1
		.amdhsa_system_sgpr_workgroup_info 0
		.amdhsa_system_vgpr_workitem_id 2
		.amdhsa_next_free_vgpr 44
		.amdhsa_next_free_sgpr 36
		.amdhsa_reserve_vcc 1
		.amdhsa_reserve_flat_scratch 1
		.amdhsa_float_round_mode_32 0
		.amdhsa_float_round_mode_16_64 0
		.amdhsa_float_denorm_mode_32 3
		.amdhsa_float_denorm_mode_16_64 3
		.amdhsa_dx10_clamp 1
		.amdhsa_ieee_mode 1
		.amdhsa_fp16_overflow 0
		.amdhsa_exception_fp_ieee_invalid_op 0
		.amdhsa_exception_fp_denorm_src 0
		.amdhsa_exception_fp_ieee_div_zero 0
		.amdhsa_exception_fp_ieee_overflow 0
		.amdhsa_exception_fp_ieee_underflow 0
		.amdhsa_exception_fp_ieee_inexact 0
		.amdhsa_exception_int_div_zero 0
	.end_amdhsa_kernel
	.text
.Lfunc_end81:
	.size	Transform_I8_S_000_16_16_VW_4, .Lfunc_end81-Transform_I8_S_000_16_16_VW_4
                                        ; -- End function
	.set Transform_I8_S_000_16_16_VW_4.num_vgpr, max(44, .L__assert_fail.num_vgpr)
	.set Transform_I8_S_000_16_16_VW_4.num_agpr, max(0, .L__assert_fail.num_agpr)
	.set Transform_I8_S_000_16_16_VW_4.numbered_sgpr, max(36, .L__assert_fail.numbered_sgpr)
	.set Transform_I8_S_000_16_16_VW_4.num_named_barrier, max(0, .L__assert_fail.num_named_barrier)
	.set Transform_I8_S_000_16_16_VW_4.private_seg_size, 0+max(.L__assert_fail.private_seg_size)
	.set Transform_I8_S_000_16_16_VW_4.uses_vcc, or(1, .L__assert_fail.uses_vcc)
	.set Transform_I8_S_000_16_16_VW_4.uses_flat_scratch, or(1, .L__assert_fail.uses_flat_scratch)
	.set Transform_I8_S_000_16_16_VW_4.has_dyn_sized_stack, or(0, .L__assert_fail.has_dyn_sized_stack)
	.set Transform_I8_S_000_16_16_VW_4.has_recursion, or(0, .L__assert_fail.has_recursion)
	.set Transform_I8_S_000_16_16_VW_4.has_indirect_call, or(0, .L__assert_fail.has_indirect_call)
	.section	.AMDGPU.csdata,"",@progbits
; Kernel info:
; codeLenInByte = 1404
; TotalNumSgprs: 42
; NumVgprs: 44
; ScratchSize: 64
; MemoryBound: 0
; FloatMode: 240
; IeeeMode: 1
; LDSByteSize: 4096 bytes/workgroup (compile time only)
; SGPRBlocks: 5
; VGPRBlocks: 10
; NumSGPRsForWavesPerEU: 42
; NumVGPRsForWavesPerEU: 44
; Occupancy: 5
; WaveLimiterHint : 1
; COMPUTE_PGM_RSRC2:SCRATCH_EN: 1
; COMPUTE_PGM_RSRC2:USER_SGPR: 10
; COMPUTE_PGM_RSRC2:TRAP_HANDLER: 0
; COMPUTE_PGM_RSRC2:TGID_X_EN: 1
; COMPUTE_PGM_RSRC2:TGID_Y_EN: 0
; COMPUTE_PGM_RSRC2:TGID_Z_EN: 1
; COMPUTE_PGM_RSRC2:TIDIG_COMP_CNT: 2
	.text
	.protected	Transform_I32_S_111_16_16_VW_1 ; -- Begin function Transform_I32_S_111_16_16_VW_1
	.globl	Transform_I32_S_111_16_16_VW_1
	.p2align	8
	.type	Transform_I32_S_111_16_16_VW_1,@function
Transform_I32_S_111_16_16_VW_1:         ; @Transform_I32_S_111_16_16_VW_1
; %bb.0:
	s_mov_b64 s[26:27], s[4:5]
	s_load_dword s4, s[4:5], 0x64
	s_add_u32 flat_scratch_lo, s6, s10
	s_addc_u32 flat_scratch_hi, s7, 0
	s_add_u32 s0, s0, s10
	s_addc_u32 s1, s1, 0
	s_waitcnt lgkmcnt(0)
	s_and_b32 s4, s4, 0xffff
	s_mov_b32 s28, s9
	s_mov_b32 s29, s8
	v_mov_b32_e32 v41, v0
	s_cmpk_eq_i32 s4, 0x100
	s_mov_b64 s[4:5], -1
	s_mov_b32 s32, 0
	s_cbranch_scc1 .LBB82_2
; %bb.1:
	s_add_u32 s8, s26, 0x58
	s_addc_u32 s9, s27, 0
	s_getpc_b64 s[4:5]
	s_add_u32 s4, s4, __PRETTY_FUNCTION__._ZN10amd_detail9transformIifLb1ELb1ELb1ELj16ELj16ELj1EEEvPT_PKS1_S4_T0_PKS5_S5_S7_jjjjjjbb@rel32@lo+4
	s_addc_u32 s5, s5, __PRETTY_FUNCTION__._ZN10amd_detail9transformIifLb1ELb1ELb1ELj16ELj16ELj1EEEvPT_PKS1_S4_T0_PKS5_S5_S7_jjjjjjbb@rel32@hi+12
	s_getpc_b64 s[6:7]
	s_add_u32 s6, s6, __assert_fail@rel32@lo+4
	s_addc_u32 s7, s7, __assert_fail@rel32@hi+12
	v_mov_b32_e32 v0, s4
	v_mov_b32_e32 v1, s5
	s_swappc_b64 s[30:31], s[6:7]
	s_mov_b64 s[4:5], 0
	; divergent unreachable
.LBB82_2:
	s_andn2_b64 vcc, exec, s[4:5]
	s_cbranch_vccnz .LBB82_13
; %bb.3:
	s_load_dwordx8 s[4:11], s[26:27], 0x38
	s_waitcnt lgkmcnt(0)
	s_lshr_b32 s11, s4, 4
	s_and_b32 s12, s4, 15
	s_cmp_lg_u32 s12, 0
	s_cselect_b64 s[12:13], -1, 0
	s_cmp_lg_u64 s[12:13], 0
	s_addc_u32 s11, s11, 0
	v_cvt_f32_u32_e32 v0, s11
	s_load_dword s15, s[26:27], 0x18
	s_load_dwordx2 s[12:13], s[26:27], 0x20
	s_sub_i32 s14, 0, s11
	v_rcp_iflag_f32_e32 v0, v0
	v_mul_f32_e32 v0, 0x4f7ffffe, v0
	v_cvt_u32_f32_e32 v0, v0
	v_readfirstlane_b32 s16, v0
	s_mul_i32 s14, s14, s16
	s_mul_hi_u32 s14, s16, s14
	s_add_i32 s16, s16, s14
	s_mul_hi_u32 s14, s29, s16
	s_waitcnt lgkmcnt(0)
	s_cmp_eq_u64 s[12:13], 0
	v_mov_b32_e32 v0, s15
	s_cbranch_scc1 .LBB82_5
; %bb.4:
	v_mov_b32_e32 v0, 0
	global_load_dword v0, v0, s[12:13]
.LBB82_5:
	s_load_dwordx2 s[12:13], s[26:27], 0x30
	s_load_dword s15, s[26:27], 0x28
	s_waitcnt lgkmcnt(0)
	s_cmp_eq_u64 s[12:13], 0
	v_mov_b32_e32 v1, s15
	s_cbranch_scc1 .LBB82_7
; %bb.6:
	v_mov_b32_e32 v1, 0
	global_load_dword v1, v1, s[12:13]
.LBB82_7:
	s_mul_i32 s12, s14, s11
	s_sub_i32 s12, s29, s12
	s_add_i32 s13, s14, 1
	s_sub_i32 s15, s12, s11
	s_cmp_ge_u32 s12, s11
	s_cselect_b32 s13, s13, s14
	s_cselect_b32 s12, s15, s12
	s_add_i32 s14, s13, 1
	s_cmp_ge_u32 s12, s11
	s_cselect_b32 s12, s14, s13
	s_mul_i32 s11, s12, s11
	s_sub_i32 s11, s29, s11
	v_and_b32_e32 v2, 15, v41
	v_lshrrev_b32_e32 v4, 4, v41
	v_lshl_or_b32 v3, s11, 4, v2
	v_lshl_add_u32 v2, s12, 4, v4
	v_cmp_gt_u32_e32 vcc, s4, v3
	v_cmp_gt_u32_e64 s[4:5], s5, v2
	s_and_b64 s[4:5], vcc, s[4:5]
	s_and_saveexec_b64 s[12:13], s[4:5]
	s_cbranch_execz .LBB82_13
; %bb.8:
	s_load_dwordx4 s[12:15], s[26:27], 0x0
	s_load_dwordx2 s[4:5], s[26:27], 0x10
	s_mul_i32 s9, s9, s28
	v_mov_b32_e32 v5, 0
	v_mov_b32_e32 v4, 0
	s_waitcnt lgkmcnt(0)
	s_cmp_eq_u64 s[14:15], 0
	s_cbranch_scc1 .LBB82_10
; %bb.9:
	s_bitcmp1_b32 s10, 0
	s_cselect_b64 vcc, -1, 0
	v_cndmask_b32_e32 v4, v3, v2, vcc
	v_mul_lo_u32 v4, v4, s6
	v_cndmask_b32_e32 v6, v2, v3, vcc
	v_mov_b32_e32 v7, 0
	v_add3_u32 v6, v6, s9, v4
	v_lshlrev_b64 v[6:7], 2, v[6:7]
	v_mov_b32_e32 v4, s15
	v_add_co_u32_e32 v6, vcc, s14, v6
	v_addc_co_u32_e32 v7, vcc, v4, v7, vcc
	global_load_dword v4, v[6:7], off
	s_waitcnt vmcnt(0)
	v_cvt_f32_i32_e32 v4, v4
.LBB82_10:
	s_cmp_eq_u64 s[4:5], 0
	s_cbranch_scc1 .LBB82_12
; %bb.11:
	s_load_dword s6, s[26:27], 0x50
	v_mov_b32_e32 v6, 0
	v_mov_b32_e32 v7, s5
	s_waitcnt lgkmcnt(0)
	s_bitcmp1_b32 s6, 8
	s_cselect_b64 vcc, -1, 0
	v_cndmask_b32_e32 v5, v3, v2, vcc
	v_mul_lo_u32 v5, v5, s7
	v_cndmask_b32_e32 v8, v2, v3, vcc
	v_add3_u32 v5, v8, s9, v5
	v_lshlrev_b64 v[5:6], 2, v[5:6]
	v_add_co_u32_e32 v5, vcc, s4, v5
	v_addc_co_u32_e32 v6, vcc, v7, v6, vcc
	global_load_dword v5, v[5:6], off
	s_waitcnt vmcnt(0)
	v_cvt_f32_i32_e32 v5, v5
.LBB82_12:
	v_mul_lo_u32 v3, v3, s8
	s_waitcnt vmcnt(0)
	v_mul_f32_e32 v1, v1, v5
	v_fmac_f32_e32 v1, v0, v4
	v_cvt_i32_f32_e32 v4, v1
	v_add3_u32 v0, v2, s9, v3
	v_mov_b32_e32 v1, 0
	v_lshlrev_b64 v[0:1], 2, v[0:1]
	v_mov_b32_e32 v2, s13
	v_add_co_u32_e32 v0, vcc, s12, v0
	v_addc_co_u32_e32 v1, vcc, v2, v1, vcc
	global_store_dword v[0:1], v4, off
.LBB82_13:
	s_endpgm
	.section	.rodata,"a",@progbits
	.p2align	6, 0x0
	.amdhsa_kernel Transform_I32_S_111_16_16_VW_1
		.amdhsa_group_segment_fixed_size 0
		.amdhsa_private_segment_fixed_size 64
		.amdhsa_kernarg_size 344
		.amdhsa_user_sgpr_count 8
		.amdhsa_user_sgpr_private_segment_buffer 1
		.amdhsa_user_sgpr_dispatch_ptr 0
		.amdhsa_user_sgpr_queue_ptr 0
		.amdhsa_user_sgpr_kernarg_segment_ptr 1
		.amdhsa_user_sgpr_dispatch_id 0
		.amdhsa_user_sgpr_flat_scratch_init 1
		.amdhsa_user_sgpr_private_segment_size 0
		.amdhsa_uses_dynamic_stack 0
		.amdhsa_system_sgpr_private_segment_wavefront_offset 1
		.amdhsa_system_sgpr_workgroup_id_x 1
		.amdhsa_system_sgpr_workgroup_id_y 0
		.amdhsa_system_sgpr_workgroup_id_z 1
		.amdhsa_system_sgpr_workgroup_info 0
		.amdhsa_system_vgpr_workitem_id 0
		.amdhsa_next_free_vgpr 42
		.amdhsa_next_free_sgpr 34
		.amdhsa_reserve_vcc 1
		.amdhsa_reserve_flat_scratch 1
		.amdhsa_float_round_mode_32 0
		.amdhsa_float_round_mode_16_64 0
		.amdhsa_float_denorm_mode_32 3
		.amdhsa_float_denorm_mode_16_64 3
		.amdhsa_dx10_clamp 1
		.amdhsa_ieee_mode 1
		.amdhsa_fp16_overflow 0
		.amdhsa_exception_fp_ieee_invalid_op 0
		.amdhsa_exception_fp_denorm_src 0
		.amdhsa_exception_fp_ieee_div_zero 0
		.amdhsa_exception_fp_ieee_overflow 0
		.amdhsa_exception_fp_ieee_underflow 0
		.amdhsa_exception_fp_ieee_inexact 0
		.amdhsa_exception_int_div_zero 0
	.end_amdhsa_kernel
	.text
.Lfunc_end82:
	.size	Transform_I32_S_111_16_16_VW_1, .Lfunc_end82-Transform_I32_S_111_16_16_VW_1
                                        ; -- End function
	.set Transform_I32_S_111_16_16_VW_1.num_vgpr, max(42, .L__assert_fail.num_vgpr)
	.set Transform_I32_S_111_16_16_VW_1.num_agpr, max(0, .L__assert_fail.num_agpr)
	.set Transform_I32_S_111_16_16_VW_1.numbered_sgpr, max(33, .L__assert_fail.numbered_sgpr)
	.set Transform_I32_S_111_16_16_VW_1.num_named_barrier, max(0, .L__assert_fail.num_named_barrier)
	.set Transform_I32_S_111_16_16_VW_1.private_seg_size, 0+max(.L__assert_fail.private_seg_size)
	.set Transform_I32_S_111_16_16_VW_1.uses_vcc, or(1, .L__assert_fail.uses_vcc)
	.set Transform_I32_S_111_16_16_VW_1.uses_flat_scratch, or(1, .L__assert_fail.uses_flat_scratch)
	.set Transform_I32_S_111_16_16_VW_1.has_dyn_sized_stack, or(0, .L__assert_fail.has_dyn_sized_stack)
	.set Transform_I32_S_111_16_16_VW_1.has_recursion, or(0, .L__assert_fail.has_recursion)
	.set Transform_I32_S_111_16_16_VW_1.has_indirect_call, or(0, .L__assert_fail.has_indirect_call)
	.section	.AMDGPU.csdata,"",@progbits
; Kernel info:
; codeLenInByte = 680
; TotalNumSgprs: 40
; NumVgprs: 42
; ScratchSize: 64
; MemoryBound: 0
; FloatMode: 240
; IeeeMode: 1
; LDSByteSize: 0 bytes/workgroup (compile time only)
; SGPRBlocks: 4
; VGPRBlocks: 10
; NumSGPRsForWavesPerEU: 40
; NumVGPRsForWavesPerEU: 42
; Occupancy: 5
; WaveLimiterHint : 1
; COMPUTE_PGM_RSRC2:SCRATCH_EN: 1
; COMPUTE_PGM_RSRC2:USER_SGPR: 8
; COMPUTE_PGM_RSRC2:TRAP_HANDLER: 0
; COMPUTE_PGM_RSRC2:TGID_X_EN: 1
; COMPUTE_PGM_RSRC2:TGID_Y_EN: 0
; COMPUTE_PGM_RSRC2:TGID_Z_EN: 1
; COMPUTE_PGM_RSRC2:TIDIG_COMP_CNT: 0
	.text
	.protected	Transform_I32_S_111_16_16_VW_4 ; -- Begin function Transform_I32_S_111_16_16_VW_4
	.globl	Transform_I32_S_111_16_16_VW_4
	.p2align	8
	.type	Transform_I32_S_111_16_16_VW_4,@function
Transform_I32_S_111_16_16_VW_4:         ; @Transform_I32_S_111_16_16_VW_4
; %bb.0:
	s_mov_b64 s[26:27], s[4:5]
	s_load_dword s4, s[6:7], 0x64
	s_add_u32 flat_scratch_lo, s8, s12
	s_addc_u32 flat_scratch_hi, s9, 0
	s_add_u32 s0, s0, s12
	s_addc_u32 s1, s1, 0
	s_waitcnt lgkmcnt(0)
	s_and_b32 s4, s4, 0xffff
	s_mov_b32 s35, s11
	s_mov_b32 s34, s10
	s_mov_b64 s[28:29], s[6:7]
	v_mov_b32_e32 v41, v2
	v_mov_b32_e32 v43, v1
	;; [unrolled: 1-line block ×3, first 2 shown]
	s_cmpk_eq_i32 s4, 0x100
	s_mov_b64 s[4:5], -1
	s_mov_b32 s32, 0
	s_cbranch_scc1 .LBB83_2
; %bb.1:
	s_add_u32 s8, s28, 0x58
	s_addc_u32 s9, s29, 0
	s_getpc_b64 s[4:5]
	s_add_u32 s4, s4, __PRETTY_FUNCTION__._ZN10amd_detail9transformIifLb1ELb1ELb1ELj16ELj16ELj4EEEvPT_PKS1_S4_T0_PKS5_S5_S7_jjjjjjbb@rel32@lo+4
	s_addc_u32 s5, s5, __PRETTY_FUNCTION__._ZN10amd_detail9transformIifLb1ELb1ELb1ELj16ELj16ELj4EEEvPT_PKS1_S4_T0_PKS5_S5_S7_jjjjjjbb@rel32@hi+12
	s_getpc_b64 s[6:7]
	s_add_u32 s6, s6, __assert_fail@rel32@lo+4
	s_addc_u32 s7, s7, __assert_fail@rel32@hi+12
	v_mov_b32_e32 v0, s4
	v_mov_b32_e32 v1, s5
	s_swappc_b64 s[30:31], s[6:7]
	s_mov_b64 s[4:5], 0
	; divergent unreachable
.LBB83_2:
	s_andn2_b64 vcc, exec, s[4:5]
	s_cbranch_vccnz .LBB83_54
; %bb.3:
	s_load_dwordx4 s[12:15], s[28:29], 0x38
	s_waitcnt lgkmcnt(0)
	s_lshr_b32 s6, s12, 4
	s_and_b32 s4, s12, 15
	s_cmp_lg_u32 s4, 0
	s_cselect_b64 s[4:5], -1, 0
	s_cmp_lg_u64 s[4:5], 0
	s_addc_u32 s6, s6, 0
	v_cvt_f32_u32_e32 v0, s6
	s_load_dword s8, s[28:29], 0x18
	s_load_dwordx2 s[4:5], s[28:29], 0x20
	s_sub_i32 s7, 0, s6
	v_rcp_iflag_f32_e32 v0, v0
	s_waitcnt lgkmcnt(0)
	v_mov_b32_e32 v12, s8
	v_mul_f32_e32 v0, 0x4f7ffffe, v0
	v_cvt_u32_f32_e32 v0, v0
	v_readfirstlane_b32 s9, v0
	s_mul_i32 s7, s7, s9
	s_mul_hi_u32 s7, s9, s7
	s_add_i32 s9, s9, s7
	s_mul_hi_u32 s7, s34, s9
	s_cmp_eq_u64 s[4:5], 0
	s_cbranch_scc1 .LBB83_5
; %bb.4:
	v_mov_b32_e32 v0, 0
	global_load_dword v12, v0, s[4:5]
.LBB83_5:
	s_load_dwordx2 s[4:5], s[28:29], 0x30
	s_load_dword s8, s[28:29], 0x28
	s_waitcnt lgkmcnt(0)
	s_cmp_eq_u64 s[4:5], 0
	v_mov_b32_e32 v13, s8
	s_cbranch_scc1 .LBB83_7
; %bb.6:
	v_mov_b32_e32 v0, 0
	global_load_dword v13, v0, s[4:5]
.LBB83_7:
	s_mul_i32 s4, s7, s6
	s_sub_i32 s4, s34, s4
	s_add_i32 s5, s7, 1
	s_sub_i32 s8, s4, s6
	s_cmp_ge_u32 s4, s6
	s_cselect_b32 s5, s5, s7
	s_cselect_b32 s4, s8, s4
	s_add_i32 s7, s5, 1
	s_cmp_ge_u32 s4, s6
	s_cselect_b32 s30, s7, s5
	s_mul_i32 s31, s30, s6
	s_sub_i32 s4, s34, s31
	v_and_b32_e32 v7, 15, v42
	v_lshl_or_b32 v4, s4, 4, v7
	v_cmp_gt_u32_e32 vcc, s12, v4
	s_and_saveexec_b64 s[4:5], vcc
	s_cbranch_execz .LBB83_54
; %bb.8:
	v_lshrrev_b32_e32 v0, 2, v42
	s_lshl_b32 s12, s30, 6
	v_and_b32_e32 v9, 0xfc, v0
	s_load_dwordx4 s[20:23], s[28:29], 0x48
	v_add_u32_e32 v8, s12, v9
	v_add_u32_e32 v11, 4, v8
	v_sub_u32_e64 v10, v11, s13 clamp
	s_load_dwordx4 s[16:19], s[28:29], 0x0
	s_load_dwordx2 s[24:25], s[28:29], 0x10
	v_sub_u32_e32 v0, v8, v10
	v_mad_u64_u32 v[1:2], s[4:5], v4, s14, v[0:1]
	s_waitcnt lgkmcnt(0)
	s_bitcmp1_b32 s22, 0
	s_cselect_b64 vcc, -1, 0
	s_cmp_lg_u64 s[18:19], 0
	s_mul_i32 s21, s21, s35
	s_cselect_b64 s[10:11], -1, 0
	s_cmp_eq_u64 s[18:19], 0
	v_mov_b32_e32 v15, 0
	v_mov_b32_e32 v14, 0
	s_cbranch_scc1 .LBB83_10
; %bb.9:
	v_mad_u64_u32 v[2:3], s[4:5], v0, s14, v[4:5]
	v_mov_b32_e32 v3, 0
	v_mov_b32_e32 v5, s19
	v_cndmask_b32_e32 v2, v1, v2, vcc
	v_add_u32_e32 v2, s21, v2
	v_lshlrev_b64 v[2:3], 2, v[2:3]
	v_add_co_u32_e64 v2, s[4:5], s18, v2
	v_addc_co_u32_e64 v3, s[4:5], v5, v3, s[4:5]
	global_load_dword v2, v[2:3], off
	s_waitcnt vmcnt(0)
	v_cvt_f32_i32_e32 v14, v2
.LBB83_10:
	s_load_dword s6, s[28:29], 0x50
	v_mad_u64_u32 v[2:3], s[4:5], v4, s15, v[0:1]
	s_xor_b64 s[8:9], vcc, -1
	v_mul_lo_u32 v3, v0, s15
	s_waitcnt lgkmcnt(0)
	s_bitcmp1_b32 s6, 8
	s_cselect_b64 s[6:7], -1, 0
	s_cmp_lg_u64 s[24:25], 0
	s_cselect_b64 s[22:23], -1, 0
	s_cmp_eq_u64 s[24:25], 0
	s_cbranch_scc1 .LBB83_12
; %bb.11:
	v_add_u32_e32 v5, v3, v4
	v_cndmask_b32_e64 v5, v2, v5, s[6:7]
	v_add_u32_e32 v5, s21, v5
	v_mov_b32_e32 v6, 0
	v_lshlrev_b64 v[5:6], 2, v[5:6]
	v_mov_b32_e32 v15, s25
	v_add_co_u32_e32 v5, vcc, s24, v5
	v_addc_co_u32_e32 v6, vcc, v15, v6, vcc
	global_load_dword v5, v[5:6], off
	s_waitcnt vmcnt(0)
	v_cvt_f32_i32_e32 v15, v5
.LBB83_12:
	v_cndmask_b32_e64 v5, 0, 1, s[8:9]
	v_cmp_ne_u32_e64 s[4:5], 1, v5
	s_andn2_b64 vcc, exec, s[8:9]
	s_cbranch_vccnz .LBB83_14
; %bb.13:
	v_add_u32_e32 v5, 1, v1
	s_xor_b64 s[8:9], s[6:7], -1
	s_cbranch_execz .LBB83_15
	s_branch .LBB83_16
.LBB83_14:
                                        ; implicit-def: $vgpr5
	s_xor_b64 s[8:9], s[6:7], -1
.LBB83_15:
	v_mul_lo_u32 v5, s14, v0
	v_add3_u32 v5, v5, s14, v4
.LBB83_16:
	v_cndmask_b32_e64 v6, 0, 1, s[8:9]
	v_cmp_ne_u32_e64 s[6:7], 1, v6
	s_andn2_b64 vcc, exec, s[8:9]
	s_cbranch_vccnz .LBB83_18
; %bb.17:
	v_add_u32_e32 v6, 1, v2
	s_cbranch_execz .LBB83_19
	s_branch .LBB83_20
.LBB83_18:
                                        ; implicit-def: $vgpr6
.LBB83_19:
	v_add3_u32 v6, v3, s15, v4
.LBB83_20:
	v_cndmask_b32_e64 v16, 0, 1, s[10:11]
	v_mov_b32_e32 v17, 0
	v_cmp_ne_u32_e64 s[8:9], 1, v16
	s_andn2_b64 vcc, exec, s[10:11]
	v_mov_b32_e32 v16, 0
	s_cbranch_vccnz .LBB83_22
; %bb.21:
	v_add_u32_e32 v18, s21, v5
	v_mov_b32_e32 v19, 0
	v_lshlrev_b64 v[18:19], 2, v[18:19]
	v_mov_b32_e32 v5, s19
	v_add_co_u32_e32 v18, vcc, s18, v18
	v_addc_co_u32_e32 v19, vcc, v5, v19, vcc
	global_load_dword v5, v[18:19], off
	s_waitcnt vmcnt(0)
	v_cvt_f32_i32_e32 v16, v5
.LBB83_22:
	v_cndmask_b32_e64 v5, 0, 1, s[22:23]
	v_cmp_ne_u32_e64 s[10:11], 1, v5
	s_andn2_b64 vcc, exec, s[22:23]
	s_cbranch_vccnz .LBB83_24
; %bb.23:
	v_add_u32_e32 v5, s21, v6
	v_mov_b32_e32 v6, 0
	v_lshlrev_b64 v[5:6], 2, v[5:6]
	v_mov_b32_e32 v17, s25
	v_add_co_u32_e32 v5, vcc, s24, v5
	v_addc_co_u32_e32 v6, vcc, v17, v6, vcc
	global_load_dword v5, v[5:6], off
	s_waitcnt vmcnt(0)
	v_cvt_f32_i32_e32 v17, v5
.LBB83_24:
	s_and_b64 vcc, exec, s[4:5]
	s_cbranch_vccnz .LBB83_26
; %bb.25:
	v_add_u32_e32 v5, 2, v1
	s_cbranch_execz .LBB83_27
	s_branch .LBB83_28
.LBB83_26:
                                        ; implicit-def: $vgpr5
.LBB83_27:
	v_add_u32_e32 v5, 2, v0
	v_mad_u64_u32 v[5:6], s[22:23], v5, s14, v[4:5]
.LBB83_28:
	s_and_b64 vcc, exec, s[6:7]
	s_cbranch_vccnz .LBB83_30
; %bb.29:
	v_add_u32_e32 v6, 2, v2
	s_cbranch_execz .LBB83_31
	s_branch .LBB83_32
.LBB83_30:
                                        ; implicit-def: $vgpr6
.LBB83_31:
	s_lshl_b32 s22, s15, 1
	v_add3_u32 v6, v3, s22, v4
.LBB83_32:
	v_mov_b32_e32 v19, 0
	s_and_b64 vcc, exec, s[8:9]
	v_mov_b32_e32 v18, 0
	s_cbranch_vccnz .LBB83_34
; %bb.33:
	v_add_u32_e32 v20, s21, v5
	v_mov_b32_e32 v21, 0
	v_lshlrev_b64 v[20:21], 2, v[20:21]
	v_mov_b32_e32 v5, s19
	v_add_co_u32_e32 v20, vcc, s18, v20
	v_addc_co_u32_e32 v21, vcc, v5, v21, vcc
	global_load_dword v5, v[20:21], off
	s_waitcnt vmcnt(0)
	v_cvt_f32_i32_e32 v18, v5
.LBB83_34:
	s_and_b64 vcc, exec, s[10:11]
	s_cbranch_vccnz .LBB83_36
; %bb.35:
	v_add_u32_e32 v5, s21, v6
	v_mov_b32_e32 v6, 0
	v_lshlrev_b64 v[5:6], 2, v[5:6]
	v_mov_b32_e32 v19, s25
	v_add_co_u32_e32 v5, vcc, s24, v5
	v_addc_co_u32_e32 v6, vcc, v19, v6, vcc
	global_load_dword v5, v[5:6], off
	s_waitcnt vmcnt(0)
	v_cvt_f32_i32_e32 v19, v5
.LBB83_36:
	s_and_b64 vcc, exec, s[4:5]
	s_cbranch_vccnz .LBB83_38
; %bb.37:
	v_add_u32_e32 v5, 3, v1
	s_cbranch_execz .LBB83_39
	s_branch .LBB83_40
.LBB83_38:
                                        ; implicit-def: $vgpr5
.LBB83_39:
	v_add_u32_e32 v0, 3, v0
	v_mad_u64_u32 v[5:6], s[4:5], v0, s14, v[4:5]
.LBB83_40:
	s_and_b64 vcc, exec, s[6:7]
	s_cbranch_vccnz .LBB83_42
; %bb.41:
	v_add_u32_e32 v0, 3, v2
	s_cbranch_execz .LBB83_43
	s_branch .LBB83_44
.LBB83_42:
                                        ; implicit-def: $vgpr0
.LBB83_43:
	s_mul_i32 s4, s15, 3
	v_add3_u32 v0, v3, s4, v4
.LBB83_44:
	v_mov_b32_e32 v6, 0
	s_and_b64 vcc, exec, s[8:9]
	v_mov_b32_e32 v3, 0
	s_cbranch_vccnz .LBB83_46
; %bb.45:
	v_add_u32_e32 v1, s21, v5
	v_mov_b32_e32 v2, 0
	v_lshlrev_b64 v[1:2], 2, v[1:2]
	v_mov_b32_e32 v3, s19
	v_add_co_u32_e32 v1, vcc, s18, v1
	v_addc_co_u32_e32 v2, vcc, v3, v2, vcc
	global_load_dword v1, v[1:2], off
	s_waitcnt vmcnt(0)
	v_cvt_f32_i32_e32 v3, v1
.LBB83_46:
	s_and_b64 vcc, exec, s[10:11]
	s_cbranch_vccnz .LBB83_48
; %bb.47:
	v_add_u32_e32 v0, s21, v0
	v_mov_b32_e32 v1, 0
	v_lshlrev_b64 v[0:1], 2, v[0:1]
	v_mov_b32_e32 v2, s25
	v_add_co_u32_e32 v0, vcc, s24, v0
	v_addc_co_u32_e32 v1, vcc, v2, v1, vcc
	global_load_dword v0, v[0:1], off
	s_waitcnt vmcnt(0)
	v_cvt_f32_i32_e32 v6, v0
.LBB83_48:
	s_load_dwordx2 s[4:5], s[26:27], 0x4
	s_waitcnt vmcnt(0)
	v_mul_f32_e32 v0, v13, v15
	v_mul_f32_e32 v1, v13, v17
	;; [unrolled: 1-line block ×4, first 2 shown]
	s_waitcnt lgkmcnt(0)
	s_lshr_b32 s4, s4, 16
	s_mul_i32 s4, s4, s5
	v_mul_lo_u32 v5, s4, v42
	v_fmac_f32_e32 v0, v12, v14
	v_fmac_f32_e32 v1, v12, v16
	;; [unrolled: 1-line block ×4, first 2 shown]
	v_cvt_i32_f32_e32 v0, v0
	v_cvt_i32_f32_e32 v1, v1
	;; [unrolled: 1-line block ×4, first 2 shown]
	v_mad_u32_u24 v6, v43, s5, v5
	v_add_lshl_u32 v6, v6, v41, 4
	v_cmp_ge_u32_e32 vcc, s13, v11
	ds_write_b128 v6, v[0:3]
	s_and_saveexec_b64 s[6:7], vcc
	s_xor_b64 s[6:7], exec, s[6:7]
	s_cbranch_execz .LBB83_50
; %bb.49:
	v_mul_lo_u32 v4, v4, s20
	v_mov_b32_e32 v5, 0
	v_mov_b32_e32 v9, s17
                                        ; implicit-def: $vgpr11
                                        ; implicit-def: $vgpr42
                                        ; implicit-def: $vgpr43
                                        ; implicit-def: $vgpr41
	v_add3_u32 v4, v8, s21, v4
	v_sub_u32_e32 v4, v4, v10
	v_lshlrev_b64 v[6:7], 2, v[4:5]
                                        ; implicit-def: $vgpr8
                                        ; implicit-def: $vgpr10
	v_add_co_u32_e32 v6, vcc, s16, v6
	v_addc_co_u32_e32 v7, vcc, v9, v7, vcc
	global_store_dword v[6:7], v0, off
	v_add_u32_e32 v6, 1, v4
	v_mov_b32_e32 v7, v5
	v_lshlrev_b64 v[6:7], 2, v[6:7]
	v_mov_b32_e32 v0, s17
	v_add_co_u32_e32 v6, vcc, s16, v6
	v_addc_co_u32_e32 v7, vcc, v0, v7, vcc
	global_store_dword v[6:7], v1, off
	v_add_u32_e32 v0, 2, v4
	v_mov_b32_e32 v1, v5
	v_lshlrev_b64 v[0:1], 2, v[0:1]
	v_mov_b32_e32 v6, s17
	v_add_co_u32_e32 v0, vcc, s16, v0
	v_addc_co_u32_e32 v1, vcc, v6, v1, vcc
	v_add_u32_e32 v4, 3, v4
	global_store_dword v[0:1], v2, off
	v_lshlrev_b64 v[0:1], 2, v[4:5]
	v_mov_b32_e32 v2, s17
	v_add_co_u32_e32 v0, vcc, s16, v0
	v_addc_co_u32_e32 v1, vcc, v2, v1, vcc
	global_store_dword v[0:1], v3, off
                                        ; implicit-def: $vgpr7
                                        ; implicit-def: $vgpr9
                                        ; implicit-def: $vgpr5
.LBB83_50:
	s_andn2_saveexec_b64 s[6:7], s[6:7]
	s_cbranch_execz .LBB83_54
; %bb.51:
	v_cmp_gt_u32_e32 vcc, 4, v10
	s_and_b64 exec, exec, vcc
	s_cbranch_execz .LBB83_54
; %bb.52:
	v_lshl_or_b32 v0, s34, 4, v7
	s_lshl_b32 s4, s31, 4
	v_mul_u32_u24_e32 v1, s5, v43
	v_subrev_u32_e32 v0, s4, v0
	v_lshrrev_b32_e32 v4, 4, v42
	v_mul_lo_u32 v0, s20, v0
	v_add3_u32 v1, v1, v41, v4
	v_min_u32_e32 v3, s13, v11
	v_add_lshl_u32 v1, v1, v5, 4
	v_sub_u32_e32 v2, v8, v3
	v_lshl_add_u32 v1, s30, 8, v1
	v_lshlrev_b32_e32 v3, 2, v3
	s_add_i32 s12, s12, s21
	v_sub_u32_e32 v1, v1, v3
	v_add_u32_e32 v2, 3, v2
	v_add3_u32 v0, s12, v0, v9
	v_add_u32_e32 v3, 16, v1
	s_mov_b64 s[6:7], 0
	v_mov_b32_e32 v1, 0
	v_mov_b32_e32 v4, s17
.LBB83_53:                              ; =>This Inner Loop Header: Depth=1
	ds_read_b32 v7, v3
	v_lshlrev_b64 v[5:6], 2, v[0:1]
	v_add_u32_e32 v2, 1, v2
	v_cmp_lt_u32_e32 vcc, 2, v2
	v_add_co_u32_e64 v5, s[4:5], s16, v5
	v_add_u32_e32 v0, 1, v0
	v_add_u32_e32 v3, 4, v3
	v_addc_co_u32_e64 v6, s[4:5], v4, v6, s[4:5]
	s_or_b64 s[6:7], vcc, s[6:7]
	s_waitcnt lgkmcnt(0)
	global_store_dword v[5:6], v7, off
	s_andn2_b64 exec, exec, s[6:7]
	s_cbranch_execnz .LBB83_53
.LBB83_54:
	s_endpgm
	.section	.rodata,"a",@progbits
	.p2align	6, 0x0
	.amdhsa_kernel Transform_I32_S_111_16_16_VW_4
		.amdhsa_group_segment_fixed_size 16384
		.amdhsa_private_segment_fixed_size 64
		.amdhsa_kernarg_size 344
		.amdhsa_user_sgpr_count 10
		.amdhsa_user_sgpr_private_segment_buffer 1
		.amdhsa_user_sgpr_dispatch_ptr 1
		.amdhsa_user_sgpr_queue_ptr 0
		.amdhsa_user_sgpr_kernarg_segment_ptr 1
		.amdhsa_user_sgpr_dispatch_id 0
		.amdhsa_user_sgpr_flat_scratch_init 1
		.amdhsa_user_sgpr_private_segment_size 0
		.amdhsa_uses_dynamic_stack 0
		.amdhsa_system_sgpr_private_segment_wavefront_offset 1
		.amdhsa_system_sgpr_workgroup_id_x 1
		.amdhsa_system_sgpr_workgroup_id_y 0
		.amdhsa_system_sgpr_workgroup_id_z 1
		.amdhsa_system_sgpr_workgroup_info 0
		.amdhsa_system_vgpr_workitem_id 2
		.amdhsa_next_free_vgpr 44
		.amdhsa_next_free_sgpr 36
		.amdhsa_reserve_vcc 1
		.amdhsa_reserve_flat_scratch 1
		.amdhsa_float_round_mode_32 0
		.amdhsa_float_round_mode_16_64 0
		.amdhsa_float_denorm_mode_32 3
		.amdhsa_float_denorm_mode_16_64 3
		.amdhsa_dx10_clamp 1
		.amdhsa_ieee_mode 1
		.amdhsa_fp16_overflow 0
		.amdhsa_exception_fp_ieee_invalid_op 0
		.amdhsa_exception_fp_denorm_src 0
		.amdhsa_exception_fp_ieee_div_zero 0
		.amdhsa_exception_fp_ieee_overflow 0
		.amdhsa_exception_fp_ieee_underflow 0
		.amdhsa_exception_fp_ieee_inexact 0
		.amdhsa_exception_int_div_zero 0
	.end_amdhsa_kernel
	.text
.Lfunc_end83:
	.size	Transform_I32_S_111_16_16_VW_4, .Lfunc_end83-Transform_I32_S_111_16_16_VW_4
                                        ; -- End function
	.set Transform_I32_S_111_16_16_VW_4.num_vgpr, max(44, .L__assert_fail.num_vgpr)
	.set Transform_I32_S_111_16_16_VW_4.num_agpr, max(0, .L__assert_fail.num_agpr)
	.set Transform_I32_S_111_16_16_VW_4.numbered_sgpr, max(36, .L__assert_fail.numbered_sgpr)
	.set Transform_I32_S_111_16_16_VW_4.num_named_barrier, max(0, .L__assert_fail.num_named_barrier)
	.set Transform_I32_S_111_16_16_VW_4.private_seg_size, 0+max(.L__assert_fail.private_seg_size)
	.set Transform_I32_S_111_16_16_VW_4.uses_vcc, or(1, .L__assert_fail.uses_vcc)
	.set Transform_I32_S_111_16_16_VW_4.uses_flat_scratch, or(1, .L__assert_fail.uses_flat_scratch)
	.set Transform_I32_S_111_16_16_VW_4.has_dyn_sized_stack, or(0, .L__assert_fail.has_dyn_sized_stack)
	.set Transform_I32_S_111_16_16_VW_4.has_recursion, or(0, .L__assert_fail.has_recursion)
	.set Transform_I32_S_111_16_16_VW_4.has_indirect_call, or(0, .L__assert_fail.has_indirect_call)
	.section	.AMDGPU.csdata,"",@progbits
; Kernel info:
; codeLenInByte = 1756
; TotalNumSgprs: 42
; NumVgprs: 44
; ScratchSize: 64
; MemoryBound: 0
; FloatMode: 240
; IeeeMode: 1
; LDSByteSize: 16384 bytes/workgroup (compile time only)
; SGPRBlocks: 5
; VGPRBlocks: 10
; NumSGPRsForWavesPerEU: 42
; NumVGPRsForWavesPerEU: 44
; Occupancy: 5
; WaveLimiterHint : 1
; COMPUTE_PGM_RSRC2:SCRATCH_EN: 1
; COMPUTE_PGM_RSRC2:USER_SGPR: 10
; COMPUTE_PGM_RSRC2:TRAP_HANDLER: 0
; COMPUTE_PGM_RSRC2:TGID_X_EN: 1
; COMPUTE_PGM_RSRC2:TGID_Y_EN: 0
; COMPUTE_PGM_RSRC2:TGID_Z_EN: 1
; COMPUTE_PGM_RSRC2:TIDIG_COMP_CNT: 2
	.text
	.protected	Transform_I32_S_110_16_16_VW_1 ; -- Begin function Transform_I32_S_110_16_16_VW_1
	.globl	Transform_I32_S_110_16_16_VW_1
	.p2align	8
	.type	Transform_I32_S_110_16_16_VW_1,@function
Transform_I32_S_110_16_16_VW_1:         ; @Transform_I32_S_110_16_16_VW_1
; %bb.0:
	s_mov_b64 s[26:27], s[4:5]
	s_load_dword s4, s[4:5], 0x64
	s_add_u32 flat_scratch_lo, s6, s10
	s_addc_u32 flat_scratch_hi, s7, 0
	s_add_u32 s0, s0, s10
	s_addc_u32 s1, s1, 0
	s_waitcnt lgkmcnt(0)
	s_and_b32 s4, s4, 0xffff
	s_mov_b32 s28, s9
	s_mov_b32 s29, s8
	v_mov_b32_e32 v41, v0
	s_cmpk_eq_i32 s4, 0x100
	s_mov_b64 s[4:5], -1
	s_mov_b32 s32, 0
	s_cbranch_scc1 .LBB84_2
; %bb.1:
	s_add_u32 s8, s26, 0x58
	s_addc_u32 s9, s27, 0
	s_getpc_b64 s[4:5]
	s_add_u32 s4, s4, __PRETTY_FUNCTION__._ZN10amd_detail9transformIifLb1ELb1ELb0ELj16ELj16ELj1EEEvPT_PKS1_S4_T0_PKS5_S5_S7_jjjjjjbb@rel32@lo+4
	s_addc_u32 s5, s5, __PRETTY_FUNCTION__._ZN10amd_detail9transformIifLb1ELb1ELb0ELj16ELj16ELj1EEEvPT_PKS1_S4_T0_PKS5_S5_S7_jjjjjjbb@rel32@hi+12
	s_getpc_b64 s[6:7]
	s_add_u32 s6, s6, __assert_fail@rel32@lo+4
	s_addc_u32 s7, s7, __assert_fail@rel32@hi+12
	v_mov_b32_e32 v0, s4
	v_mov_b32_e32 v1, s5
	s_swappc_b64 s[30:31], s[6:7]
	s_mov_b64 s[4:5], 0
	; divergent unreachable
.LBB84_2:
	s_andn2_b64 vcc, exec, s[4:5]
	s_cbranch_vccnz .LBB84_13
; %bb.3:
	s_load_dwordx8 s[4:11], s[26:27], 0x38
	s_waitcnt lgkmcnt(0)
	s_lshr_b32 s11, s4, 4
	s_and_b32 s12, s4, 15
	s_cmp_lg_u32 s12, 0
	s_cselect_b64 s[12:13], -1, 0
	s_cmp_lg_u64 s[12:13], 0
	s_addc_u32 s11, s11, 0
	v_cvt_f32_u32_e32 v0, s11
	s_load_dword s15, s[26:27], 0x18
	s_load_dwordx2 s[12:13], s[26:27], 0x20
	s_sub_i32 s14, 0, s11
	v_rcp_iflag_f32_e32 v0, v0
	v_mul_f32_e32 v0, 0x4f7ffffe, v0
	v_cvt_u32_f32_e32 v0, v0
	v_readfirstlane_b32 s16, v0
	s_mul_i32 s14, s14, s16
	s_mul_hi_u32 s14, s16, s14
	s_add_i32 s16, s16, s14
	s_mul_hi_u32 s14, s29, s16
	s_waitcnt lgkmcnt(0)
	s_cmp_eq_u64 s[12:13], 0
	v_mov_b32_e32 v0, s15
	s_cbranch_scc1 .LBB84_5
; %bb.4:
	v_mov_b32_e32 v0, 0
	global_load_dword v0, v0, s[12:13]
.LBB84_5:
	s_load_dwordx2 s[12:13], s[26:27], 0x30
	s_load_dword s15, s[26:27], 0x28
	s_waitcnt lgkmcnt(0)
	s_cmp_eq_u64 s[12:13], 0
	v_mov_b32_e32 v1, s15
	s_cbranch_scc1 .LBB84_7
; %bb.6:
	v_mov_b32_e32 v1, 0
	global_load_dword v1, v1, s[12:13]
.LBB84_7:
	s_mul_i32 s12, s14, s11
	s_sub_i32 s12, s29, s12
	s_add_i32 s13, s14, 1
	s_sub_i32 s15, s12, s11
	s_cmp_ge_u32 s12, s11
	s_cselect_b32 s13, s13, s14
	s_cselect_b32 s12, s15, s12
	s_add_i32 s14, s13, 1
	s_cmp_ge_u32 s12, s11
	s_cselect_b32 s12, s14, s13
	s_mul_i32 s11, s12, s11
	s_sub_i32 s11, s29, s11
	v_and_b32_e32 v2, 15, v41
	v_lshrrev_b32_e32 v3, 4, v41
	v_lshl_or_b32 v2, s11, 4, v2
	v_lshl_add_u32 v3, s12, 4, v3
	v_cmp_gt_u32_e32 vcc, s4, v2
	v_cmp_gt_u32_e64 s[4:5], s5, v3
	s_and_b64 s[4:5], vcc, s[4:5]
	s_and_saveexec_b64 s[12:13], s[4:5]
	s_cbranch_execz .LBB84_13
; %bb.8:
	s_load_dwordx4 s[12:15], s[26:27], 0x0
	s_load_dwordx2 s[4:5], s[26:27], 0x10
	s_mul_i32 s9, s9, s28
	v_mov_b32_e32 v5, 0
	v_mov_b32_e32 v4, 0
	s_waitcnt lgkmcnt(0)
	s_cmp_eq_u64 s[14:15], 0
	s_cbranch_scc1 .LBB84_10
; %bb.9:
	s_bitcmp1_b32 s10, 0
	s_cselect_b64 vcc, -1, 0
	v_cndmask_b32_e32 v4, v2, v3, vcc
	v_mul_lo_u32 v4, v4, s6
	v_cndmask_b32_e32 v6, v3, v2, vcc
	v_mov_b32_e32 v7, 0
	v_add3_u32 v6, v6, s9, v4
	v_lshlrev_b64 v[6:7], 2, v[6:7]
	v_mov_b32_e32 v4, s15
	v_add_co_u32_e32 v6, vcc, s14, v6
	v_addc_co_u32_e32 v7, vcc, v4, v7, vcc
	global_load_dword v4, v[6:7], off
	s_waitcnt vmcnt(0)
	v_cvt_f32_i32_e32 v4, v4
.LBB84_10:
	s_cmp_eq_u64 s[4:5], 0
	s_cbranch_scc1 .LBB84_12
; %bb.11:
	s_load_dword s6, s[26:27], 0x50
	v_mov_b32_e32 v6, 0
	v_mov_b32_e32 v7, s5
	s_waitcnt lgkmcnt(0)
	s_bitcmp1_b32 s6, 8
	s_cselect_b64 vcc, -1, 0
	v_cndmask_b32_e32 v5, v2, v3, vcc
	v_mul_lo_u32 v5, v5, s7
	v_cndmask_b32_e32 v8, v3, v2, vcc
	v_add3_u32 v5, v8, s9, v5
	v_lshlrev_b64 v[5:6], 2, v[5:6]
	v_add_co_u32_e32 v5, vcc, s4, v5
	v_addc_co_u32_e32 v6, vcc, v7, v6, vcc
	global_load_dword v5, v[5:6], off
	s_waitcnt vmcnt(0)
	v_cvt_f32_i32_e32 v5, v5
.LBB84_12:
	v_mul_lo_u32 v3, v3, s8
	s_waitcnt vmcnt(0)
	v_mul_f32_e32 v1, v1, v5
	v_fmac_f32_e32 v1, v0, v4
	v_cvt_i32_f32_e32 v4, v1
	v_add3_u32 v0, v2, s9, v3
	v_mov_b32_e32 v1, 0
	v_lshlrev_b64 v[0:1], 2, v[0:1]
	v_mov_b32_e32 v2, s13
	v_add_co_u32_e32 v0, vcc, s12, v0
	v_addc_co_u32_e32 v1, vcc, v2, v1, vcc
	global_store_dword v[0:1], v4, off
.LBB84_13:
	s_endpgm
	.section	.rodata,"a",@progbits
	.p2align	6, 0x0
	.amdhsa_kernel Transform_I32_S_110_16_16_VW_1
		.amdhsa_group_segment_fixed_size 0
		.amdhsa_private_segment_fixed_size 64
		.amdhsa_kernarg_size 344
		.amdhsa_user_sgpr_count 8
		.amdhsa_user_sgpr_private_segment_buffer 1
		.amdhsa_user_sgpr_dispatch_ptr 0
		.amdhsa_user_sgpr_queue_ptr 0
		.amdhsa_user_sgpr_kernarg_segment_ptr 1
		.amdhsa_user_sgpr_dispatch_id 0
		.amdhsa_user_sgpr_flat_scratch_init 1
		.amdhsa_user_sgpr_private_segment_size 0
		.amdhsa_uses_dynamic_stack 0
		.amdhsa_system_sgpr_private_segment_wavefront_offset 1
		.amdhsa_system_sgpr_workgroup_id_x 1
		.amdhsa_system_sgpr_workgroup_id_y 0
		.amdhsa_system_sgpr_workgroup_id_z 1
		.amdhsa_system_sgpr_workgroup_info 0
		.amdhsa_system_vgpr_workitem_id 0
		.amdhsa_next_free_vgpr 42
		.amdhsa_next_free_sgpr 34
		.amdhsa_reserve_vcc 1
		.amdhsa_reserve_flat_scratch 1
		.amdhsa_float_round_mode_32 0
		.amdhsa_float_round_mode_16_64 0
		.amdhsa_float_denorm_mode_32 3
		.amdhsa_float_denorm_mode_16_64 3
		.amdhsa_dx10_clamp 1
		.amdhsa_ieee_mode 1
		.amdhsa_fp16_overflow 0
		.amdhsa_exception_fp_ieee_invalid_op 0
		.amdhsa_exception_fp_denorm_src 0
		.amdhsa_exception_fp_ieee_div_zero 0
		.amdhsa_exception_fp_ieee_overflow 0
		.amdhsa_exception_fp_ieee_underflow 0
		.amdhsa_exception_fp_ieee_inexact 0
		.amdhsa_exception_int_div_zero 0
	.end_amdhsa_kernel
	.text
.Lfunc_end84:
	.size	Transform_I32_S_110_16_16_VW_1, .Lfunc_end84-Transform_I32_S_110_16_16_VW_1
                                        ; -- End function
	.set Transform_I32_S_110_16_16_VW_1.num_vgpr, max(42, .L__assert_fail.num_vgpr)
	.set Transform_I32_S_110_16_16_VW_1.num_agpr, max(0, .L__assert_fail.num_agpr)
	.set Transform_I32_S_110_16_16_VW_1.numbered_sgpr, max(33, .L__assert_fail.numbered_sgpr)
	.set Transform_I32_S_110_16_16_VW_1.num_named_barrier, max(0, .L__assert_fail.num_named_barrier)
	.set Transform_I32_S_110_16_16_VW_1.private_seg_size, 0+max(.L__assert_fail.private_seg_size)
	.set Transform_I32_S_110_16_16_VW_1.uses_vcc, or(1, .L__assert_fail.uses_vcc)
	.set Transform_I32_S_110_16_16_VW_1.uses_flat_scratch, or(1, .L__assert_fail.uses_flat_scratch)
	.set Transform_I32_S_110_16_16_VW_1.has_dyn_sized_stack, or(0, .L__assert_fail.has_dyn_sized_stack)
	.set Transform_I32_S_110_16_16_VW_1.has_recursion, or(0, .L__assert_fail.has_recursion)
	.set Transform_I32_S_110_16_16_VW_1.has_indirect_call, or(0, .L__assert_fail.has_indirect_call)
	.section	.AMDGPU.csdata,"",@progbits
; Kernel info:
; codeLenInByte = 680
; TotalNumSgprs: 40
; NumVgprs: 42
; ScratchSize: 64
; MemoryBound: 0
; FloatMode: 240
; IeeeMode: 1
; LDSByteSize: 0 bytes/workgroup (compile time only)
; SGPRBlocks: 4
; VGPRBlocks: 10
; NumSGPRsForWavesPerEU: 40
; NumVGPRsForWavesPerEU: 42
; Occupancy: 5
; WaveLimiterHint : 1
; COMPUTE_PGM_RSRC2:SCRATCH_EN: 1
; COMPUTE_PGM_RSRC2:USER_SGPR: 8
; COMPUTE_PGM_RSRC2:TRAP_HANDLER: 0
; COMPUTE_PGM_RSRC2:TGID_X_EN: 1
; COMPUTE_PGM_RSRC2:TGID_Y_EN: 0
; COMPUTE_PGM_RSRC2:TGID_Z_EN: 1
; COMPUTE_PGM_RSRC2:TIDIG_COMP_CNT: 0
	.text
	.protected	Transform_I32_S_110_16_16_VW_4 ; -- Begin function Transform_I32_S_110_16_16_VW_4
	.globl	Transform_I32_S_110_16_16_VW_4
	.p2align	8
	.type	Transform_I32_S_110_16_16_VW_4,@function
Transform_I32_S_110_16_16_VW_4:         ; @Transform_I32_S_110_16_16_VW_4
; %bb.0:
	s_mov_b64 s[26:27], s[4:5]
	s_load_dword s4, s[6:7], 0x64
	s_add_u32 flat_scratch_lo, s8, s12
	s_addc_u32 flat_scratch_hi, s9, 0
	s_add_u32 s0, s0, s12
	s_addc_u32 s1, s1, 0
	s_waitcnt lgkmcnt(0)
	s_and_b32 s4, s4, 0xffff
	s_mov_b32 s35, s11
	s_mov_b32 s34, s10
	s_mov_b64 s[28:29], s[6:7]
	v_mov_b32_e32 v41, v2
	v_mov_b32_e32 v43, v1
	;; [unrolled: 1-line block ×3, first 2 shown]
	s_cmpk_eq_i32 s4, 0x100
	s_mov_b64 s[4:5], -1
	s_mov_b32 s32, 0
	s_cbranch_scc1 .LBB85_2
; %bb.1:
	s_add_u32 s8, s28, 0x58
	s_addc_u32 s9, s29, 0
	s_getpc_b64 s[4:5]
	s_add_u32 s4, s4, __PRETTY_FUNCTION__._ZN10amd_detail9transformIifLb1ELb1ELb0ELj16ELj16ELj4EEEvPT_PKS1_S4_T0_PKS5_S5_S7_jjjjjjbb@rel32@lo+4
	s_addc_u32 s5, s5, __PRETTY_FUNCTION__._ZN10amd_detail9transformIifLb1ELb1ELb0ELj16ELj16ELj4EEEvPT_PKS1_S4_T0_PKS5_S5_S7_jjjjjjbb@rel32@hi+12
	s_getpc_b64 s[6:7]
	s_add_u32 s6, s6, __assert_fail@rel32@lo+4
	s_addc_u32 s7, s7, __assert_fail@rel32@hi+12
	v_mov_b32_e32 v0, s4
	v_mov_b32_e32 v1, s5
	s_swappc_b64 s[30:31], s[6:7]
	s_mov_b64 s[4:5], 0
	; divergent unreachable
.LBB85_2:
	s_andn2_b64 vcc, exec, s[4:5]
	s_cbranch_vccnz .LBB85_54
; %bb.3:
	s_load_dwordx8 s[12:19], s[28:29], 0x38
	s_waitcnt lgkmcnt(0)
	s_lshr_b32 s6, s12, 6
	s_and_b32 s4, s12, 63
	s_cmp_lg_u32 s4, 0
	s_cselect_b64 s[4:5], -1, 0
	s_cmp_lg_u64 s[4:5], 0
	s_addc_u32 s6, s6, 0
	v_cvt_f32_u32_e32 v0, s6
	s_load_dword s8, s[28:29], 0x18
	s_load_dwordx2 s[4:5], s[28:29], 0x20
	s_sub_i32 s7, 0, s6
	v_rcp_iflag_f32_e32 v0, v0
	s_waitcnt lgkmcnt(0)
	v_mov_b32_e32 v9, s8
	v_mul_f32_e32 v0, 0x4f7ffffe, v0
	v_cvt_u32_f32_e32 v0, v0
	v_readfirstlane_b32 s9, v0
	s_mul_i32 s7, s7, s9
	s_mul_hi_u32 s7, s9, s7
	s_add_i32 s9, s9, s7
	s_mul_hi_u32 s7, s34, s9
	s_cmp_eq_u64 s[4:5], 0
	s_cbranch_scc1 .LBB85_5
; %bb.4:
	v_mov_b32_e32 v0, 0
	global_load_dword v9, v0, s[4:5]
.LBB85_5:
	s_load_dwordx2 s[4:5], s[28:29], 0x30
	s_load_dword s8, s[28:29], 0x28
	s_waitcnt lgkmcnt(0)
	s_cmp_eq_u64 s[4:5], 0
	v_mov_b32_e32 v11, s8
	s_cbranch_scc1 .LBB85_7
; %bb.6:
	v_mov_b32_e32 v0, 0
	global_load_dword v11, v0, s[4:5]
.LBB85_7:
	s_mul_i32 s4, s7, s6
	s_sub_i32 s4, s34, s4
	s_add_i32 s5, s7, 1
	s_sub_i32 s8, s4, s6
	s_cmp_ge_u32 s4, s6
	s_cselect_b32 s5, s5, s7
	s_cselect_b32 s4, s8, s4
	s_add_i32 s7, s5, 1
	s_cmp_ge_u32 s4, s6
	s_cselect_b32 s4, s7, s5
	v_lshrrev_b32_e32 v0, 4, v42
	v_lshl_add_u32 v4, s4, 4, v0
	v_cmp_gt_u32_e32 vcc, s13, v4
	s_and_saveexec_b64 s[8:9], vcc
	s_cbranch_execz .LBB85_54
; %bb.8:
	s_mul_i32 s13, s4, s6
	v_lshlrev_b32_e32 v0, 2, v42
	s_sub_i32 s4, s34, s13
	v_and_b32_e32 v8, 60, v0
	v_lshl_or_b32 v12, s4, 6, v8
	v_add_u32_e32 v13, 4, v12
	s_load_dwordx4 s[20:23], s[28:29], 0x0
	s_load_dwordx2 s[24:25], s[28:29], 0x10
	v_sub_u32_e64 v10, v13, s12 clamp
	v_sub_u32_e32 v3, v12, v10
	v_mad_u64_u32 v[0:1], s[4:5], v4, s14, v[3:4]
	s_bitcmp1_b32 s18, 0
	s_cselect_b64 vcc, -1, 0
	s_waitcnt lgkmcnt(0)
	s_cmp_lg_u64 s[22:23], 0
	s_mul_i32 s17, s17, s35
	s_cselect_b64 s[10:11], -1, 0
	s_cmp_eq_u64 s[22:23], 0
	v_mov_b32_e32 v15, 0
	v_mov_b32_e32 v14, 0
	s_cbranch_scc1 .LBB85_10
; %bb.9:
	v_mad_u64_u32 v[1:2], s[4:5], v3, s14, v[4:5]
	v_mov_b32_e32 v2, 0
	v_mov_b32_e32 v5, s23
	v_cndmask_b32_e32 v1, v1, v0, vcc
	v_add_u32_e32 v1, s17, v1
	v_lshlrev_b64 v[1:2], 2, v[1:2]
	v_add_co_u32_e64 v1, s[4:5], s22, v1
	v_addc_co_u32_e64 v2, s[4:5], v5, v2, s[4:5]
	global_load_dword v1, v[1:2], off
	s_waitcnt vmcnt(0)
	v_cvt_f32_i32_e32 v14, v1
.LBB85_10:
	s_load_dword s6, s[28:29], 0x50
	s_xor_b64 s[8:9], vcc, -1
	v_mad_u64_u32 v[1:2], s[4:5], v4, s15, v[3:4]
	s_waitcnt lgkmcnt(0)
	s_bitcmp1_b32 s6, 8
	s_cselect_b64 s[6:7], -1, 0
	s_cmp_lg_u64 s[24:25], 0
	s_cselect_b64 s[18:19], -1, 0
	s_cmp_eq_u64 s[24:25], 0
	s_cbranch_scc1 .LBB85_12
; %bb.11:
	v_mad_u64_u32 v[5:6], s[4:5], v3, s15, v[4:5]
	v_mov_b32_e32 v6, 0
	v_mov_b32_e32 v2, s25
	v_cndmask_b32_e64 v5, v5, v1, s[6:7]
	v_add_u32_e32 v5, s17, v5
	v_lshlrev_b64 v[5:6], 2, v[5:6]
	v_add_co_u32_e32 v5, vcc, s24, v5
	v_addc_co_u32_e32 v6, vcc, v2, v6, vcc
	global_load_dword v2, v[5:6], off
	s_waitcnt vmcnt(0)
	v_cvt_f32_i32_e32 v15, v2
.LBB85_12:
	v_cndmask_b32_e64 v2, 0, 1, s[8:9]
	v_cmp_ne_u32_e64 s[4:5], 1, v2
	s_andn2_b64 vcc, exec, s[8:9]
	s_cbranch_vccnz .LBB85_14
; %bb.13:
	v_mul_lo_u32 v2, s14, v3
	v_add3_u32 v2, v2, s14, v4
	s_xor_b64 s[8:9], s[6:7], -1
	s_cbranch_execz .LBB85_15
	s_branch .LBB85_16
.LBB85_14:
                                        ; implicit-def: $vgpr2
	s_xor_b64 s[8:9], s[6:7], -1
.LBB85_15:
	v_add_u32_e32 v2, 1, v0
.LBB85_16:
	v_cndmask_b32_e64 v5, 0, 1, s[8:9]
	v_cmp_ne_u32_e64 s[6:7], 1, v5
	s_andn2_b64 vcc, exec, s[8:9]
	s_cbranch_vccnz .LBB85_18
; %bb.17:
	v_mul_lo_u32 v5, s15, v3
	v_add3_u32 v5, v5, s15, v4
	s_cbranch_execz .LBB85_19
	s_branch .LBB85_20
.LBB85_18:
                                        ; implicit-def: $vgpr5
.LBB85_19:
	v_add_u32_e32 v5, 1, v1
.LBB85_20:
	v_cndmask_b32_e64 v6, 0, 1, s[10:11]
	v_mov_b32_e32 v17, 0
	v_cmp_ne_u32_e64 s[8:9], 1, v6
	s_andn2_b64 vcc, exec, s[10:11]
	v_mov_b32_e32 v16, 0
	s_cbranch_vccnz .LBB85_22
; %bb.21:
	v_add_u32_e32 v6, s17, v2
	v_mov_b32_e32 v7, 0
	v_lshlrev_b64 v[6:7], 2, v[6:7]
	v_mov_b32_e32 v2, s23
	v_add_co_u32_e32 v6, vcc, s22, v6
	v_addc_co_u32_e32 v7, vcc, v2, v7, vcc
	global_load_dword v2, v[6:7], off
	s_waitcnt vmcnt(0)
	v_cvt_f32_i32_e32 v16, v2
.LBB85_22:
	v_cndmask_b32_e64 v2, 0, 1, s[18:19]
	v_cmp_ne_u32_e64 s[10:11], 1, v2
	s_andn2_b64 vcc, exec, s[18:19]
	s_cbranch_vccnz .LBB85_24
; %bb.23:
	v_add_u32_e32 v5, s17, v5
	v_mov_b32_e32 v6, 0
	v_lshlrev_b64 v[5:6], 2, v[5:6]
	v_mov_b32_e32 v2, s25
	v_add_co_u32_e32 v5, vcc, s24, v5
	v_addc_co_u32_e32 v6, vcc, v2, v6, vcc
	global_load_dword v2, v[5:6], off
	s_waitcnt vmcnt(0)
	v_cvt_f32_i32_e32 v17, v2
.LBB85_24:
	s_and_b64 vcc, exec, s[4:5]
	v_add_u32_e32 v2, 2, v3
	s_cbranch_vccnz .LBB85_26
; %bb.25:
	v_mad_u64_u32 v[5:6], s[18:19], v2, s14, v[4:5]
	s_cbranch_execz .LBB85_27
	s_branch .LBB85_28
.LBB85_26:
                                        ; implicit-def: $vgpr5
.LBB85_27:
	v_add_u32_e32 v5, 2, v0
.LBB85_28:
	s_and_b64 vcc, exec, s[6:7]
	s_cbranch_vccnz .LBB85_30
; %bb.29:
	v_mad_u64_u32 v[6:7], s[18:19], v2, s15, v[4:5]
	s_cbranch_execz .LBB85_31
	s_branch .LBB85_32
.LBB85_30:
                                        ; implicit-def: $vgpr6
.LBB85_31:
	v_add_u32_e32 v6, 2, v1
.LBB85_32:
	v_mov_b32_e32 v18, 0
	s_and_b64 vcc, exec, s[8:9]
	v_mov_b32_e32 v7, 0
	s_cbranch_vccnz .LBB85_34
; %bb.33:
	v_add_u32_e32 v19, s17, v5
	v_mov_b32_e32 v20, 0
	v_lshlrev_b64 v[19:20], 2, v[19:20]
	v_mov_b32_e32 v2, s23
	v_add_co_u32_e32 v19, vcc, s22, v19
	v_addc_co_u32_e32 v20, vcc, v2, v20, vcc
	global_load_dword v2, v[19:20], off
	s_waitcnt vmcnt(0)
	v_cvt_f32_i32_e32 v7, v2
.LBB85_34:
	s_and_b64 vcc, exec, s[10:11]
	s_cbranch_vccnz .LBB85_36
; %bb.35:
	v_add_u32_e32 v5, s17, v6
	v_mov_b32_e32 v6, 0
	v_lshlrev_b64 v[5:6], 2, v[5:6]
	v_mov_b32_e32 v2, s25
	v_add_co_u32_e32 v5, vcc, s24, v5
	v_addc_co_u32_e32 v6, vcc, v2, v6, vcc
	global_load_dword v2, v[5:6], off
	s_waitcnt vmcnt(0)
	v_cvt_f32_i32_e32 v18, v2
.LBB85_36:
	s_and_b64 vcc, exec, s[4:5]
	v_add_u32_e32 v5, 3, v3
	s_cbranch_vccnz .LBB85_38
; %bb.37:
	v_mad_u64_u32 v[2:3], s[4:5], v5, s14, v[4:5]
	s_cbranch_execz .LBB85_39
	s_branch .LBB85_40
.LBB85_38:
                                        ; implicit-def: $vgpr2
.LBB85_39:
	v_add_u32_e32 v2, 3, v0
.LBB85_40:
	s_and_b64 vcc, exec, s[6:7]
	s_cbranch_vccnz .LBB85_42
; %bb.41:
	v_mad_u64_u32 v[5:6], s[4:5], v5, s15, v[4:5]
	s_cbranch_execz .LBB85_43
	s_branch .LBB85_44
.LBB85_42:
                                        ; implicit-def: $vgpr5
.LBB85_43:
	v_add_u32_e32 v5, 3, v1
.LBB85_44:
	v_mov_b32_e32 v6, 0
	s_and_b64 vcc, exec, s[8:9]
	v_mov_b32_e32 v3, 0
	s_cbranch_vccnz .LBB85_46
; %bb.45:
	v_add_u32_e32 v0, s17, v2
	v_mov_b32_e32 v1, 0
	v_lshlrev_b64 v[0:1], 2, v[0:1]
	v_mov_b32_e32 v2, s23
	v_add_co_u32_e32 v0, vcc, s22, v0
	v_addc_co_u32_e32 v1, vcc, v2, v1, vcc
	global_load_dword v0, v[0:1], off
	s_waitcnt vmcnt(0)
	v_cvt_f32_i32_e32 v3, v0
.LBB85_46:
	s_and_b64 vcc, exec, s[10:11]
	s_cbranch_vccnz .LBB85_48
; %bb.47:
	v_add_u32_e32 v0, s17, v5
	v_mov_b32_e32 v1, 0
	v_lshlrev_b64 v[0:1], 2, v[0:1]
	v_mov_b32_e32 v2, s25
	v_add_co_u32_e32 v0, vcc, s24, v0
	v_addc_co_u32_e32 v1, vcc, v2, v1, vcc
	global_load_dword v0, v[0:1], off
	s_waitcnt vmcnt(0)
	v_cvt_f32_i32_e32 v6, v0
.LBB85_48:
	s_load_dwordx2 s[4:5], s[26:27], 0x4
	s_waitcnt vmcnt(0)
	v_mul_f32_e32 v0, v11, v15
	v_mul_f32_e32 v1, v11, v17
	;; [unrolled: 1-line block ×4, first 2 shown]
	s_waitcnt lgkmcnt(0)
	s_lshr_b32 s4, s4, 16
	s_mul_i32 s4, s4, s5
	v_mul_lo_u32 v5, s4, v42
	v_fmac_f32_e32 v0, v9, v14
	v_fmac_f32_e32 v1, v9, v16
	;; [unrolled: 1-line block ×4, first 2 shown]
	v_cvt_i32_f32_e32 v0, v0
	v_cvt_i32_f32_e32 v1, v1
	;; [unrolled: 1-line block ×4, first 2 shown]
	v_mul_lo_u32 v4, v4, s16
	v_mad_u32_u24 v6, v43, s5, v5
	v_add_lshl_u32 v6, v6, v41, 4
	v_cmp_ge_u32_e32 vcc, s12, v13
	ds_write_b128 v6, v[0:3]
	s_and_saveexec_b64 s[6:7], vcc
	s_xor_b64 s[6:7], exec, s[6:7]
	s_cbranch_execz .LBB85_50
; %bb.49:
	v_add_u32_e32 v5, s17, v12
	v_sub_u32_e32 v5, v5, v10
	v_add_u32_e32 v4, v5, v4
	v_mov_b32_e32 v5, 0
	v_lshlrev_b64 v[6:7], 2, v[4:5]
	v_mov_b32_e32 v8, s21
	v_add_co_u32_e32 v6, vcc, s20, v6
	v_addc_co_u32_e32 v7, vcc, v8, v7, vcc
	global_store_dword v[6:7], v0, off
	v_add_u32_e32 v6, 1, v4
	v_mov_b32_e32 v7, v5
	v_lshlrev_b64 v[6:7], 2, v[6:7]
	v_mov_b32_e32 v0, s21
	v_add_co_u32_e32 v6, vcc, s20, v6
	v_addc_co_u32_e32 v7, vcc, v0, v7, vcc
	global_store_dword v[6:7], v1, off
	v_add_u32_e32 v0, 2, v4
	v_mov_b32_e32 v1, v5
	v_lshlrev_b64 v[0:1], 2, v[0:1]
	v_mov_b32_e32 v6, s21
	v_add_co_u32_e32 v0, vcc, s20, v0
	v_addc_co_u32_e32 v1, vcc, v6, v1, vcc
	v_add_u32_e32 v4, 3, v4
	global_store_dword v[0:1], v2, off
	v_lshlrev_b64 v[0:1], 2, v[4:5]
	v_mov_b32_e32 v2, s21
	v_add_co_u32_e32 v0, vcc, s20, v0
	v_addc_co_u32_e32 v1, vcc, v2, v1, vcc
	global_store_dword v[0:1], v3, off
                                        ; implicit-def: $vgpr10
                                        ; implicit-def: $vgpr43
                                        ; implicit-def: $vgpr8
                                        ; implicit-def: $vgpr4
                                        ; implicit-def: $vgpr41
                                        ; implicit-def: $vgpr5
                                        ; implicit-def: $vgpr42
.LBB85_50:
	s_andn2_saveexec_b64 s[6:7], s[6:7]
	s_cbranch_execz .LBB85_54
; %bb.51:
	v_cmp_gt_u32_e32 vcc, 4, v10
	s_and_b64 exec, exec, vcc
	s_cbranch_execz .LBB85_54
; %bb.52:
	v_mul_u32_u24_e32 v1, s5, v43
	v_lshl_or_b32 v0, s34, 6, v8
	s_lshl_b32 s4, s13, 6
	v_subrev_u32_e32 v2, s4, v0
	v_add3_u32 v0, s17, v4, v0
	v_add3_u32 v1, v1, v41, v5
	v_and_b32_e32 v4, 15, v42
	v_add_u32_e32 v3, 4, v2
	v_add_lshl_u32 v1, v1, v4, 4
	v_min_u32_e32 v3, s12, v3
	v_subrev_u32_e32 v0, s4, v0
	v_lshl_add_u32 v1, s34, 8, v1
	s_lshl_b32 s4, s13, 8
	v_sub_u32_e32 v2, v2, v3
	v_subrev_u32_e32 v1, s4, v1
	v_lshlrev_b32_e32 v3, 2, v3
	v_sub_u32_e32 v1, v1, v3
	v_add_u32_e32 v2, 3, v2
	v_add_u32_e32 v3, 16, v1
	s_mov_b64 s[6:7], 0
	v_mov_b32_e32 v1, 0
	v_mov_b32_e32 v4, s21
.LBB85_53:                              ; =>This Inner Loop Header: Depth=1
	ds_read_b32 v7, v3
	v_lshlrev_b64 v[5:6], 2, v[0:1]
	v_add_u32_e32 v2, 1, v2
	v_cmp_lt_u32_e32 vcc, 2, v2
	v_add_co_u32_e64 v5, s[4:5], s20, v5
	v_add_u32_e32 v0, 1, v0
	v_add_u32_e32 v3, 4, v3
	v_addc_co_u32_e64 v6, s[4:5], v4, v6, s[4:5]
	s_or_b64 s[6:7], vcc, s[6:7]
	s_waitcnt lgkmcnt(0)
	global_store_dword v[5:6], v7, off
	s_andn2_b64 exec, exec, s[6:7]
	s_cbranch_execnz .LBB85_53
.LBB85_54:
	s_endpgm
	.section	.rodata,"a",@progbits
	.p2align	6, 0x0
	.amdhsa_kernel Transform_I32_S_110_16_16_VW_4
		.amdhsa_group_segment_fixed_size 16384
		.amdhsa_private_segment_fixed_size 64
		.amdhsa_kernarg_size 344
		.amdhsa_user_sgpr_count 10
		.amdhsa_user_sgpr_private_segment_buffer 1
		.amdhsa_user_sgpr_dispatch_ptr 1
		.amdhsa_user_sgpr_queue_ptr 0
		.amdhsa_user_sgpr_kernarg_segment_ptr 1
		.amdhsa_user_sgpr_dispatch_id 0
		.amdhsa_user_sgpr_flat_scratch_init 1
		.amdhsa_user_sgpr_private_segment_size 0
		.amdhsa_uses_dynamic_stack 0
		.amdhsa_system_sgpr_private_segment_wavefront_offset 1
		.amdhsa_system_sgpr_workgroup_id_x 1
		.amdhsa_system_sgpr_workgroup_id_y 0
		.amdhsa_system_sgpr_workgroup_id_z 1
		.amdhsa_system_sgpr_workgroup_info 0
		.amdhsa_system_vgpr_workitem_id 2
		.amdhsa_next_free_vgpr 44
		.amdhsa_next_free_sgpr 36
		.amdhsa_reserve_vcc 1
		.amdhsa_reserve_flat_scratch 1
		.amdhsa_float_round_mode_32 0
		.amdhsa_float_round_mode_16_64 0
		.amdhsa_float_denorm_mode_32 3
		.amdhsa_float_denorm_mode_16_64 3
		.amdhsa_dx10_clamp 1
		.amdhsa_ieee_mode 1
		.amdhsa_fp16_overflow 0
		.amdhsa_exception_fp_ieee_invalid_op 0
		.amdhsa_exception_fp_denorm_src 0
		.amdhsa_exception_fp_ieee_div_zero 0
		.amdhsa_exception_fp_ieee_overflow 0
		.amdhsa_exception_fp_ieee_underflow 0
		.amdhsa_exception_fp_ieee_inexact 0
		.amdhsa_exception_int_div_zero 0
	.end_amdhsa_kernel
	.text
.Lfunc_end85:
	.size	Transform_I32_S_110_16_16_VW_4, .Lfunc_end85-Transform_I32_S_110_16_16_VW_4
                                        ; -- End function
	.set Transform_I32_S_110_16_16_VW_4.num_vgpr, max(44, .L__assert_fail.num_vgpr)
	.set Transform_I32_S_110_16_16_VW_4.num_agpr, max(0, .L__assert_fail.num_agpr)
	.set Transform_I32_S_110_16_16_VW_4.numbered_sgpr, max(36, .L__assert_fail.numbered_sgpr)
	.set Transform_I32_S_110_16_16_VW_4.num_named_barrier, max(0, .L__assert_fail.num_named_barrier)
	.set Transform_I32_S_110_16_16_VW_4.private_seg_size, 0+max(.L__assert_fail.private_seg_size)
	.set Transform_I32_S_110_16_16_VW_4.uses_vcc, or(1, .L__assert_fail.uses_vcc)
	.set Transform_I32_S_110_16_16_VW_4.uses_flat_scratch, or(1, .L__assert_fail.uses_flat_scratch)
	.set Transform_I32_S_110_16_16_VW_4.has_dyn_sized_stack, or(0, .L__assert_fail.has_dyn_sized_stack)
	.set Transform_I32_S_110_16_16_VW_4.has_recursion, or(0, .L__assert_fail.has_recursion)
	.set Transform_I32_S_110_16_16_VW_4.has_indirect_call, or(0, .L__assert_fail.has_indirect_call)
	.section	.AMDGPU.csdata,"",@progbits
; Kernel info:
; codeLenInByte = 1744
; TotalNumSgprs: 42
; NumVgprs: 44
; ScratchSize: 64
; MemoryBound: 0
; FloatMode: 240
; IeeeMode: 1
; LDSByteSize: 16384 bytes/workgroup (compile time only)
; SGPRBlocks: 5
; VGPRBlocks: 10
; NumSGPRsForWavesPerEU: 42
; NumVGPRsForWavesPerEU: 44
; Occupancy: 5
; WaveLimiterHint : 1
; COMPUTE_PGM_RSRC2:SCRATCH_EN: 1
; COMPUTE_PGM_RSRC2:USER_SGPR: 10
; COMPUTE_PGM_RSRC2:TRAP_HANDLER: 0
; COMPUTE_PGM_RSRC2:TGID_X_EN: 1
; COMPUTE_PGM_RSRC2:TGID_Y_EN: 0
; COMPUTE_PGM_RSRC2:TGID_Z_EN: 1
; COMPUTE_PGM_RSRC2:TIDIG_COMP_CNT: 2
	.text
	.protected	Transform_I32_S_101_16_16_VW_1 ; -- Begin function Transform_I32_S_101_16_16_VW_1
	.globl	Transform_I32_S_101_16_16_VW_1
	.p2align	8
	.type	Transform_I32_S_101_16_16_VW_1,@function
Transform_I32_S_101_16_16_VW_1:         ; @Transform_I32_S_101_16_16_VW_1
; %bb.0:
	s_mov_b64 s[26:27], s[4:5]
	s_load_dword s4, s[4:5], 0x64
	s_add_u32 flat_scratch_lo, s6, s10
	s_addc_u32 flat_scratch_hi, s7, 0
	s_add_u32 s0, s0, s10
	s_addc_u32 s1, s1, 0
	s_waitcnt lgkmcnt(0)
	s_and_b32 s4, s4, 0xffff
	s_mov_b32 s28, s9
	s_mov_b32 s29, s8
	v_mov_b32_e32 v41, v0
	s_cmpk_eq_i32 s4, 0x100
	s_mov_b64 s[4:5], -1
	s_mov_b32 s32, 0
	s_cbranch_scc1 .LBB86_2
; %bb.1:
	s_add_u32 s8, s26, 0x58
	s_addc_u32 s9, s27, 0
	s_getpc_b64 s[4:5]
	s_add_u32 s4, s4, __PRETTY_FUNCTION__._ZN10amd_detail9transformIifLb1ELb0ELb1ELj16ELj16ELj1EEEvPT_PKS1_S4_T0_PKS5_S5_S7_jjjjjjbb@rel32@lo+4
	s_addc_u32 s5, s5, __PRETTY_FUNCTION__._ZN10amd_detail9transformIifLb1ELb0ELb1ELj16ELj16ELj1EEEvPT_PKS1_S4_T0_PKS5_S5_S7_jjjjjjbb@rel32@hi+12
	s_getpc_b64 s[6:7]
	s_add_u32 s6, s6, __assert_fail@rel32@lo+4
	s_addc_u32 s7, s7, __assert_fail@rel32@hi+12
	v_mov_b32_e32 v0, s4
	v_mov_b32_e32 v1, s5
	s_swappc_b64 s[30:31], s[6:7]
	s_mov_b64 s[4:5], 0
	; divergent unreachable
.LBB86_2:
	s_andn2_b64 vcc, exec, s[4:5]
	s_cbranch_vccnz .LBB86_13
; %bb.3:
	s_load_dwordx8 s[4:11], s[26:27], 0x38
	s_waitcnt lgkmcnt(0)
	s_lshr_b32 s11, s4, 4
	s_and_b32 s12, s4, 15
	s_cmp_lg_u32 s12, 0
	s_cselect_b64 s[12:13], -1, 0
	s_cmp_lg_u64 s[12:13], 0
	s_addc_u32 s11, s11, 0
	v_cvt_f32_u32_e32 v0, s11
	s_load_dword s15, s[26:27], 0x18
	s_load_dwordx2 s[12:13], s[26:27], 0x20
	s_sub_i32 s14, 0, s11
	v_rcp_iflag_f32_e32 v0, v0
	v_mul_f32_e32 v0, 0x4f7ffffe, v0
	v_cvt_u32_f32_e32 v0, v0
	v_readfirstlane_b32 s16, v0
	s_mul_i32 s14, s14, s16
	s_mul_hi_u32 s14, s16, s14
	s_add_i32 s16, s16, s14
	s_mul_hi_u32 s14, s29, s16
	s_waitcnt lgkmcnt(0)
	s_cmp_eq_u64 s[12:13], 0
	v_mov_b32_e32 v0, s15
	s_cbranch_scc1 .LBB86_5
; %bb.4:
	v_mov_b32_e32 v0, 0
	global_load_dword v0, v0, s[12:13]
.LBB86_5:
	s_load_dwordx2 s[12:13], s[26:27], 0x30
	s_load_dword s15, s[26:27], 0x28
	s_waitcnt lgkmcnt(0)
	s_cmp_eq_u64 s[12:13], 0
	v_mov_b32_e32 v1, s15
	s_cbranch_scc1 .LBB86_7
; %bb.6:
	v_mov_b32_e32 v1, 0
	global_load_dword v1, v1, s[12:13]
.LBB86_7:
	s_mul_i32 s12, s14, s11
	s_sub_i32 s12, s29, s12
	s_add_i32 s13, s14, 1
	s_sub_i32 s15, s12, s11
	s_cmp_ge_u32 s12, s11
	s_cselect_b32 s13, s13, s14
	s_cselect_b32 s12, s15, s12
	s_add_i32 s14, s13, 1
	s_cmp_ge_u32 s12, s11
	s_cselect_b32 s12, s14, s13
	s_mul_i32 s11, s12, s11
	s_sub_i32 s11, s29, s11
	v_and_b32_e32 v2, 15, v41
	v_lshrrev_b32_e32 v4, 4, v41
	v_lshl_or_b32 v3, s11, 4, v2
	v_lshl_add_u32 v2, s12, 4, v4
	v_cmp_gt_u32_e32 vcc, s4, v3
	v_cmp_gt_u32_e64 s[4:5], s5, v2
	s_and_b64 s[4:5], vcc, s[4:5]
	s_and_saveexec_b64 s[12:13], s[4:5]
	s_cbranch_execz .LBB86_13
; %bb.8:
	s_load_dwordx4 s[12:15], s[26:27], 0x0
	s_load_dwordx2 s[4:5], s[26:27], 0x10
	s_mul_i32 s9, s9, s28
	v_mov_b32_e32 v5, 0
	v_mov_b32_e32 v4, 0
	s_waitcnt lgkmcnt(0)
	s_cmp_eq_u64 s[14:15], 0
	s_cbranch_scc1 .LBB86_10
; %bb.9:
	s_bitcmp1_b32 s10, 0
	s_cselect_b64 vcc, -1, 0
	v_cndmask_b32_e32 v4, v3, v2, vcc
	v_mul_lo_u32 v4, v4, s6
	v_cndmask_b32_e32 v6, v2, v3, vcc
	v_mov_b32_e32 v7, 0
	v_add3_u32 v6, v6, s9, v4
	v_lshlrev_b64 v[6:7], 2, v[6:7]
	v_mov_b32_e32 v4, s15
	v_add_co_u32_e32 v6, vcc, s14, v6
	v_addc_co_u32_e32 v7, vcc, v4, v7, vcc
	global_load_dword v4, v[6:7], off
	s_waitcnt vmcnt(0)
	v_cvt_f32_i32_e32 v4, v4
.LBB86_10:
	s_cmp_eq_u64 s[4:5], 0
	s_cbranch_scc1 .LBB86_12
; %bb.11:
	s_load_dword s6, s[26:27], 0x50
	v_mov_b32_e32 v6, 0
	v_mov_b32_e32 v7, s5
	s_waitcnt lgkmcnt(0)
	s_bitcmp1_b32 s6, 8
	s_cselect_b64 vcc, -1, 0
	v_cndmask_b32_e32 v5, v2, v3, vcc
	v_mul_lo_u32 v5, v5, s7
	v_cndmask_b32_e32 v8, v3, v2, vcc
	v_add3_u32 v5, v8, s9, v5
	v_lshlrev_b64 v[5:6], 2, v[5:6]
	v_add_co_u32_e32 v5, vcc, s4, v5
	v_addc_co_u32_e32 v6, vcc, v7, v6, vcc
	global_load_dword v5, v[5:6], off
	s_waitcnt vmcnt(0)
	v_cvt_f32_i32_e32 v5, v5
.LBB86_12:
	v_mul_lo_u32 v3, v3, s8
	s_waitcnt vmcnt(0)
	v_mul_f32_e32 v1, v1, v5
	v_fmac_f32_e32 v1, v0, v4
	v_cvt_i32_f32_e32 v4, v1
	v_add3_u32 v0, v2, s9, v3
	v_mov_b32_e32 v1, 0
	v_lshlrev_b64 v[0:1], 2, v[0:1]
	v_mov_b32_e32 v2, s13
	v_add_co_u32_e32 v0, vcc, s12, v0
	v_addc_co_u32_e32 v1, vcc, v2, v1, vcc
	global_store_dword v[0:1], v4, off
.LBB86_13:
	s_endpgm
	.section	.rodata,"a",@progbits
	.p2align	6, 0x0
	.amdhsa_kernel Transform_I32_S_101_16_16_VW_1
		.amdhsa_group_segment_fixed_size 0
		.amdhsa_private_segment_fixed_size 64
		.amdhsa_kernarg_size 344
		.amdhsa_user_sgpr_count 8
		.amdhsa_user_sgpr_private_segment_buffer 1
		.amdhsa_user_sgpr_dispatch_ptr 0
		.amdhsa_user_sgpr_queue_ptr 0
		.amdhsa_user_sgpr_kernarg_segment_ptr 1
		.amdhsa_user_sgpr_dispatch_id 0
		.amdhsa_user_sgpr_flat_scratch_init 1
		.amdhsa_user_sgpr_private_segment_size 0
		.amdhsa_uses_dynamic_stack 0
		.amdhsa_system_sgpr_private_segment_wavefront_offset 1
		.amdhsa_system_sgpr_workgroup_id_x 1
		.amdhsa_system_sgpr_workgroup_id_y 0
		.amdhsa_system_sgpr_workgroup_id_z 1
		.amdhsa_system_sgpr_workgroup_info 0
		.amdhsa_system_vgpr_workitem_id 0
		.amdhsa_next_free_vgpr 42
		.amdhsa_next_free_sgpr 34
		.amdhsa_reserve_vcc 1
		.amdhsa_reserve_flat_scratch 1
		.amdhsa_float_round_mode_32 0
		.amdhsa_float_round_mode_16_64 0
		.amdhsa_float_denorm_mode_32 3
		.amdhsa_float_denorm_mode_16_64 3
		.amdhsa_dx10_clamp 1
		.amdhsa_ieee_mode 1
		.amdhsa_fp16_overflow 0
		.amdhsa_exception_fp_ieee_invalid_op 0
		.amdhsa_exception_fp_denorm_src 0
		.amdhsa_exception_fp_ieee_div_zero 0
		.amdhsa_exception_fp_ieee_overflow 0
		.amdhsa_exception_fp_ieee_underflow 0
		.amdhsa_exception_fp_ieee_inexact 0
		.amdhsa_exception_int_div_zero 0
	.end_amdhsa_kernel
	.text
.Lfunc_end86:
	.size	Transform_I32_S_101_16_16_VW_1, .Lfunc_end86-Transform_I32_S_101_16_16_VW_1
                                        ; -- End function
	.set Transform_I32_S_101_16_16_VW_1.num_vgpr, max(42, .L__assert_fail.num_vgpr)
	.set Transform_I32_S_101_16_16_VW_1.num_agpr, max(0, .L__assert_fail.num_agpr)
	.set Transform_I32_S_101_16_16_VW_1.numbered_sgpr, max(33, .L__assert_fail.numbered_sgpr)
	.set Transform_I32_S_101_16_16_VW_1.num_named_barrier, max(0, .L__assert_fail.num_named_barrier)
	.set Transform_I32_S_101_16_16_VW_1.private_seg_size, 0+max(.L__assert_fail.private_seg_size)
	.set Transform_I32_S_101_16_16_VW_1.uses_vcc, or(1, .L__assert_fail.uses_vcc)
	.set Transform_I32_S_101_16_16_VW_1.uses_flat_scratch, or(1, .L__assert_fail.uses_flat_scratch)
	.set Transform_I32_S_101_16_16_VW_1.has_dyn_sized_stack, or(0, .L__assert_fail.has_dyn_sized_stack)
	.set Transform_I32_S_101_16_16_VW_1.has_recursion, or(0, .L__assert_fail.has_recursion)
	.set Transform_I32_S_101_16_16_VW_1.has_indirect_call, or(0, .L__assert_fail.has_indirect_call)
	.section	.AMDGPU.csdata,"",@progbits
; Kernel info:
; codeLenInByte = 680
; TotalNumSgprs: 40
; NumVgprs: 42
; ScratchSize: 64
; MemoryBound: 0
; FloatMode: 240
; IeeeMode: 1
; LDSByteSize: 0 bytes/workgroup (compile time only)
; SGPRBlocks: 4
; VGPRBlocks: 10
; NumSGPRsForWavesPerEU: 40
; NumVGPRsForWavesPerEU: 42
; Occupancy: 5
; WaveLimiterHint : 1
; COMPUTE_PGM_RSRC2:SCRATCH_EN: 1
; COMPUTE_PGM_RSRC2:USER_SGPR: 8
; COMPUTE_PGM_RSRC2:TRAP_HANDLER: 0
; COMPUTE_PGM_RSRC2:TGID_X_EN: 1
; COMPUTE_PGM_RSRC2:TGID_Y_EN: 0
; COMPUTE_PGM_RSRC2:TGID_Z_EN: 1
; COMPUTE_PGM_RSRC2:TIDIG_COMP_CNT: 0
	.text
	.protected	Transform_I32_S_101_16_16_VW_4 ; -- Begin function Transform_I32_S_101_16_16_VW_4
	.globl	Transform_I32_S_101_16_16_VW_4
	.p2align	8
	.type	Transform_I32_S_101_16_16_VW_4,@function
Transform_I32_S_101_16_16_VW_4:         ; @Transform_I32_S_101_16_16_VW_4
; %bb.0:
	s_mov_b64 s[26:27], s[4:5]
	s_load_dword s4, s[6:7], 0x64
	s_add_u32 flat_scratch_lo, s8, s12
	s_addc_u32 flat_scratch_hi, s9, 0
	s_add_u32 s0, s0, s12
	s_addc_u32 s1, s1, 0
	s_waitcnt lgkmcnt(0)
	s_and_b32 s4, s4, 0xffff
	s_mov_b32 s35, s11
	s_mov_b32 s34, s10
	s_mov_b64 s[28:29], s[6:7]
	v_mov_b32_e32 v41, v2
	v_mov_b32_e32 v43, v1
	;; [unrolled: 1-line block ×3, first 2 shown]
	s_cmpk_eq_i32 s4, 0x100
	s_mov_b64 s[4:5], -1
	s_mov_b32 s32, 0
	s_cbranch_scc1 .LBB87_2
; %bb.1:
	s_add_u32 s8, s28, 0x58
	s_addc_u32 s9, s29, 0
	s_getpc_b64 s[4:5]
	s_add_u32 s4, s4, __PRETTY_FUNCTION__._ZN10amd_detail9transformIifLb1ELb0ELb1ELj16ELj16ELj4EEEvPT_PKS1_S4_T0_PKS5_S5_S7_jjjjjjbb@rel32@lo+4
	s_addc_u32 s5, s5, __PRETTY_FUNCTION__._ZN10amd_detail9transformIifLb1ELb0ELb1ELj16ELj16ELj4EEEvPT_PKS1_S4_T0_PKS5_S5_S7_jjjjjjbb@rel32@hi+12
	s_getpc_b64 s[6:7]
	s_add_u32 s6, s6, __assert_fail@rel32@lo+4
	s_addc_u32 s7, s7, __assert_fail@rel32@hi+12
	v_mov_b32_e32 v0, s4
	v_mov_b32_e32 v1, s5
	s_swappc_b64 s[30:31], s[6:7]
	s_mov_b64 s[4:5], 0
	; divergent unreachable
.LBB87_2:
	s_andn2_b64 vcc, exec, s[4:5]
	s_cbranch_vccnz .LBB87_54
; %bb.3:
	s_load_dwordx4 s[12:15], s[28:29], 0x38
	s_waitcnt lgkmcnt(0)
	s_lshr_b32 s6, s12, 4
	s_and_b32 s4, s12, 15
	s_cmp_lg_u32 s4, 0
	s_cselect_b64 s[4:5], -1, 0
	s_cmp_lg_u64 s[4:5], 0
	s_addc_u32 s6, s6, 0
	v_cvt_f32_u32_e32 v0, s6
	s_load_dword s8, s[28:29], 0x18
	s_load_dwordx2 s[4:5], s[28:29], 0x20
	s_sub_i32 s7, 0, s6
	v_rcp_iflag_f32_e32 v0, v0
	s_waitcnt lgkmcnt(0)
	v_mov_b32_e32 v13, s8
	v_mul_f32_e32 v0, 0x4f7ffffe, v0
	v_cvt_u32_f32_e32 v0, v0
	v_readfirstlane_b32 s9, v0
	s_mul_i32 s7, s7, s9
	s_mul_hi_u32 s7, s9, s7
	s_add_i32 s9, s9, s7
	s_mul_hi_u32 s7, s34, s9
	s_cmp_eq_u64 s[4:5], 0
	s_cbranch_scc1 .LBB87_5
; %bb.4:
	v_mov_b32_e32 v0, 0
	global_load_dword v13, v0, s[4:5]
.LBB87_5:
	s_load_dwordx2 s[4:5], s[28:29], 0x30
	s_load_dword s8, s[28:29], 0x28
	s_waitcnt lgkmcnt(0)
	s_cmp_eq_u64 s[4:5], 0
	v_mov_b32_e32 v14, s8
	s_cbranch_scc1 .LBB87_7
; %bb.6:
	v_mov_b32_e32 v0, 0
	global_load_dword v14, v0, s[4:5]
.LBB87_7:
	s_mul_i32 s4, s7, s6
	s_sub_i32 s4, s34, s4
	s_add_i32 s5, s7, 1
	s_sub_i32 s8, s4, s6
	s_cmp_ge_u32 s4, s6
	s_cselect_b32 s5, s5, s7
	s_cselect_b32 s4, s8, s4
	s_add_i32 s7, s5, 1
	s_cmp_ge_u32 s4, s6
	s_cselect_b32 s30, s7, s5
	s_mul_i32 s31, s30, s6
	s_sub_i32 s4, s34, s31
	v_and_b32_e32 v8, 15, v42
	v_lshl_or_b32 v4, s4, 4, v8
	v_cmp_gt_u32_e32 vcc, s12, v4
	s_and_saveexec_b64 s[4:5], vcc
	s_cbranch_execz .LBB87_54
; %bb.8:
	v_lshrrev_b32_e32 v0, 2, v42
	s_lshl_b32 s12, s30, 6
	v_and_b32_e32 v10, 0xfc, v0
	s_load_dwordx4 s[20:23], s[28:29], 0x48
	v_add_u32_e32 v9, s12, v10
	v_add_u32_e32 v12, 4, v9
	v_sub_u32_e64 v11, v12, s13 clamp
	s_load_dwordx4 s[16:19], s[28:29], 0x0
	s_load_dwordx2 s[24:25], s[28:29], 0x10
	v_sub_u32_e32 v0, v9, v11
	v_mad_u64_u32 v[5:6], s[4:5], v4, s14, v[0:1]
	s_waitcnt lgkmcnt(0)
	s_bitcmp1_b32 s22, 0
	s_cselect_b64 vcc, -1, 0
	s_cmp_lg_u64 s[18:19], 0
	s_mul_i32 s21, s21, s35
	s_cselect_b64 s[10:11], -1, 0
	s_cmp_eq_u64 s[18:19], 0
	v_mov_b32_e32 v16, 0
	v_mov_b32_e32 v15, 0
	s_cbranch_scc1 .LBB87_10
; %bb.9:
	v_mad_u64_u32 v[1:2], s[4:5], v0, s14, v[4:5]
	v_mov_b32_e32 v2, 0
	v_mov_b32_e32 v3, s19
	v_cndmask_b32_e32 v1, v5, v1, vcc
	v_add_u32_e32 v1, s21, v1
	v_lshlrev_b64 v[1:2], 2, v[1:2]
	v_add_co_u32_e64 v1, s[4:5], s18, v1
	v_addc_co_u32_e64 v2, s[4:5], v3, v2, s[4:5]
	global_load_dword v1, v[1:2], off
	s_waitcnt vmcnt(0)
	v_cvt_f32_i32_e32 v15, v1
.LBB87_10:
	s_load_dword s6, s[28:29], 0x50
	s_xor_b64 s[8:9], vcc, -1
	v_mad_u64_u32 v[1:2], s[4:5], v4, s15, v[0:1]
	s_waitcnt lgkmcnt(0)
	s_bitcmp1_b32 s6, 8
	s_cselect_b64 s[6:7], -1, 0
	s_cmp_lg_u64 s[24:25], 0
	s_cselect_b64 s[22:23], -1, 0
	s_cmp_eq_u64 s[24:25], 0
	s_cbranch_scc1 .LBB87_12
; %bb.11:
	v_mad_u64_u32 v[2:3], s[4:5], v0, s15, v[4:5]
	v_mov_b32_e32 v3, 0
	v_mov_b32_e32 v6, s25
	v_cndmask_b32_e64 v2, v2, v1, s[6:7]
	v_add_u32_e32 v2, s21, v2
	v_lshlrev_b64 v[2:3], 2, v[2:3]
	v_add_co_u32_e32 v2, vcc, s24, v2
	v_addc_co_u32_e32 v3, vcc, v6, v3, vcc
	global_load_dword v2, v[2:3], off
	s_waitcnt vmcnt(0)
	v_cvt_f32_i32_e32 v16, v2
.LBB87_12:
	v_cndmask_b32_e64 v2, 0, 1, s[8:9]
	v_cmp_ne_u32_e64 s[4:5], 1, v2
	s_andn2_b64 vcc, exec, s[8:9]
	s_cbranch_vccnz .LBB87_14
; %bb.13:
	v_add_u32_e32 v2, 1, v5
	s_xor_b64 s[8:9], s[6:7], -1
	s_cbranch_execz .LBB87_15
	s_branch .LBB87_16
.LBB87_14:
                                        ; implicit-def: $vgpr2
	s_xor_b64 s[8:9], s[6:7], -1
.LBB87_15:
	v_mul_lo_u32 v2, s14, v0
	v_add3_u32 v2, v2, s14, v4
.LBB87_16:
	v_cndmask_b32_e64 v3, 0, 1, s[8:9]
	v_cmp_ne_u32_e64 s[6:7], 1, v3
	s_andn2_b64 vcc, exec, s[8:9]
	s_cbranch_vccnz .LBB87_18
; %bb.17:
	v_mul_lo_u32 v3, s15, v0
	v_add3_u32 v3, v3, s15, v4
	s_cbranch_execz .LBB87_19
	s_branch .LBB87_20
.LBB87_18:
                                        ; implicit-def: $vgpr3
.LBB87_19:
	v_add_u32_e32 v3, 1, v1
.LBB87_20:
	v_cndmask_b32_e64 v6, 0, 1, s[10:11]
	v_mov_b32_e32 v18, 0
	v_cmp_ne_u32_e64 s[8:9], 1, v6
	s_andn2_b64 vcc, exec, s[10:11]
	v_mov_b32_e32 v17, 0
	s_cbranch_vccnz .LBB87_22
; %bb.21:
	v_add_u32_e32 v6, s21, v2
	v_mov_b32_e32 v7, 0
	v_lshlrev_b64 v[6:7], 2, v[6:7]
	v_mov_b32_e32 v2, s19
	v_add_co_u32_e32 v6, vcc, s18, v6
	v_addc_co_u32_e32 v7, vcc, v2, v7, vcc
	global_load_dword v2, v[6:7], off
	s_waitcnt vmcnt(0)
	v_cvt_f32_i32_e32 v17, v2
.LBB87_22:
	v_cndmask_b32_e64 v2, 0, 1, s[22:23]
	v_cmp_ne_u32_e64 s[10:11], 1, v2
	s_andn2_b64 vcc, exec, s[22:23]
	s_cbranch_vccnz .LBB87_24
; %bb.23:
	v_add_u32_e32 v2, s21, v3
	v_mov_b32_e32 v3, 0
	v_lshlrev_b64 v[2:3], 2, v[2:3]
	v_mov_b32_e32 v6, s25
	v_add_co_u32_e32 v2, vcc, s24, v2
	v_addc_co_u32_e32 v3, vcc, v6, v3, vcc
	global_load_dword v2, v[2:3], off
	s_waitcnt vmcnt(0)
	v_cvt_f32_i32_e32 v18, v2
.LBB87_24:
	s_and_b64 vcc, exec, s[4:5]
	s_cbranch_vccnz .LBB87_26
; %bb.25:
	v_add_u32_e32 v2, 2, v5
	v_add_u32_e32 v6, 2, v0
	s_cbranch_execz .LBB87_27
	s_branch .LBB87_28
.LBB87_26:
                                        ; implicit-def: $vgpr2
	v_add_u32_e32 v6, 2, v0
.LBB87_27:
	v_mad_u64_u32 v[2:3], s[22:23], v6, s14, v[4:5]
.LBB87_28:
	s_and_b64 vcc, exec, s[6:7]
	s_cbranch_vccnz .LBB87_30
; %bb.29:
	v_mad_u64_u32 v[6:7], s[22:23], v6, s15, v[4:5]
	s_cbranch_execz .LBB87_31
	s_branch .LBB87_32
.LBB87_30:
                                        ; implicit-def: $vgpr6
.LBB87_31:
	v_add_u32_e32 v6, 2, v1
.LBB87_32:
	v_mov_b32_e32 v19, 0
	s_and_b64 vcc, exec, s[8:9]
	v_mov_b32_e32 v7, 0
	s_cbranch_vccnz .LBB87_34
; %bb.33:
	v_add_u32_e32 v2, s21, v2
	v_mov_b32_e32 v3, 0
	v_lshlrev_b64 v[2:3], 2, v[2:3]
	v_mov_b32_e32 v7, s19
	v_add_co_u32_e32 v2, vcc, s18, v2
	v_addc_co_u32_e32 v3, vcc, v7, v3, vcc
	global_load_dword v2, v[2:3], off
	s_waitcnt vmcnt(0)
	v_cvt_f32_i32_e32 v7, v2
.LBB87_34:
	s_and_b64 vcc, exec, s[10:11]
	s_cbranch_vccnz .LBB87_36
; %bb.35:
	v_add_u32_e32 v2, s21, v6
	v_mov_b32_e32 v3, 0
	v_lshlrev_b64 v[2:3], 2, v[2:3]
	v_mov_b32_e32 v6, s25
	v_add_co_u32_e32 v2, vcc, s24, v2
	v_addc_co_u32_e32 v3, vcc, v6, v3, vcc
	global_load_dword v2, v[2:3], off
	s_waitcnt vmcnt(0)
	v_cvt_f32_i32_e32 v19, v2
.LBB87_36:
	s_and_b64 vcc, exec, s[4:5]
	s_cbranch_vccnz .LBB87_38
; %bb.37:
	v_add_u32_e32 v2, 3, v5
	v_add_u32_e32 v0, 3, v0
	s_cbranch_execz .LBB87_39
	s_branch .LBB87_40
.LBB87_38:
                                        ; implicit-def: $vgpr2
	v_add_u32_e32 v0, 3, v0
.LBB87_39:
	v_mad_u64_u32 v[2:3], s[4:5], v0, s14, v[4:5]
.LBB87_40:
	s_and_b64 vcc, exec, s[6:7]
	s_cbranch_vccnz .LBB87_42
; %bb.41:
	v_mad_u64_u32 v[5:6], s[4:5], v0, s15, v[4:5]
	s_cbranch_execz .LBB87_43
	s_branch .LBB87_44
.LBB87_42:
                                        ; implicit-def: $vgpr5
.LBB87_43:
	v_add_u32_e32 v5, 3, v1
.LBB87_44:
	v_mov_b32_e32 v6, 0
	s_and_b64 vcc, exec, s[8:9]
	v_mov_b32_e32 v3, 0
	s_cbranch_vccnz .LBB87_46
; %bb.45:
	v_add_u32_e32 v0, s21, v2
	v_mov_b32_e32 v1, 0
	v_lshlrev_b64 v[0:1], 2, v[0:1]
	v_mov_b32_e32 v2, s19
	v_add_co_u32_e32 v0, vcc, s18, v0
	v_addc_co_u32_e32 v1, vcc, v2, v1, vcc
	global_load_dword v0, v[0:1], off
	s_waitcnt vmcnt(0)
	v_cvt_f32_i32_e32 v3, v0
.LBB87_46:
	s_and_b64 vcc, exec, s[10:11]
	s_cbranch_vccnz .LBB87_48
; %bb.47:
	v_add_u32_e32 v0, s21, v5
	v_mov_b32_e32 v1, 0
	v_lshlrev_b64 v[0:1], 2, v[0:1]
	v_mov_b32_e32 v2, s25
	v_add_co_u32_e32 v0, vcc, s24, v0
	v_addc_co_u32_e32 v1, vcc, v2, v1, vcc
	global_load_dword v0, v[0:1], off
	s_waitcnt vmcnt(0)
	v_cvt_f32_i32_e32 v6, v0
.LBB87_48:
	s_load_dwordx2 s[4:5], s[26:27], 0x4
	s_waitcnt vmcnt(0)
	v_mul_f32_e32 v0, v14, v16
	v_mul_f32_e32 v1, v14, v18
	;; [unrolled: 1-line block ×4, first 2 shown]
	s_waitcnt lgkmcnt(0)
	s_lshr_b32 s4, s4, 16
	s_mul_i32 s4, s4, s5
	v_mul_lo_u32 v5, s4, v42
	v_fmac_f32_e32 v0, v13, v15
	v_fmac_f32_e32 v1, v13, v17
	;; [unrolled: 1-line block ×4, first 2 shown]
	v_cvt_i32_f32_e32 v0, v0
	v_cvt_i32_f32_e32 v1, v1
	;; [unrolled: 1-line block ×4, first 2 shown]
	v_mad_u32_u24 v6, v43, s5, v5
	v_add_lshl_u32 v6, v6, v41, 4
	v_cmp_ge_u32_e32 vcc, s13, v12
	ds_write_b128 v6, v[0:3]
	s_and_saveexec_b64 s[6:7], vcc
	s_xor_b64 s[6:7], exec, s[6:7]
	s_cbranch_execz .LBB87_50
; %bb.49:
	v_mul_lo_u32 v4, v4, s20
	v_mov_b32_e32 v5, 0
	v_mov_b32_e32 v8, s17
                                        ; implicit-def: $vgpr10
                                        ; implicit-def: $vgpr12
                                        ; implicit-def: $vgpr42
                                        ; implicit-def: $vgpr43
                                        ; implicit-def: $vgpr41
	v_add3_u32 v4, v9, s21, v4
	v_sub_u32_e32 v4, v4, v11
	v_lshlrev_b64 v[6:7], 2, v[4:5]
                                        ; implicit-def: $vgpr9
                                        ; implicit-def: $vgpr11
	v_add_co_u32_e32 v6, vcc, s16, v6
	v_addc_co_u32_e32 v7, vcc, v8, v7, vcc
	global_store_dword v[6:7], v0, off
	v_add_u32_e32 v6, 1, v4
	v_mov_b32_e32 v7, v5
	v_lshlrev_b64 v[6:7], 2, v[6:7]
	v_mov_b32_e32 v0, s17
	v_add_co_u32_e32 v6, vcc, s16, v6
	v_addc_co_u32_e32 v7, vcc, v0, v7, vcc
	global_store_dword v[6:7], v1, off
	v_add_u32_e32 v0, 2, v4
	v_mov_b32_e32 v1, v5
	v_lshlrev_b64 v[0:1], 2, v[0:1]
	v_mov_b32_e32 v6, s17
	v_add_co_u32_e32 v0, vcc, s16, v0
	v_addc_co_u32_e32 v1, vcc, v6, v1, vcc
	v_add_u32_e32 v4, 3, v4
	global_store_dword v[0:1], v2, off
	v_lshlrev_b64 v[0:1], 2, v[4:5]
	v_mov_b32_e32 v2, s17
	v_add_co_u32_e32 v0, vcc, s16, v0
	v_addc_co_u32_e32 v1, vcc, v2, v1, vcc
	global_store_dword v[0:1], v3, off
                                        ; implicit-def: $vgpr8
                                        ; implicit-def: $vgpr5
.LBB87_50:
	s_andn2_saveexec_b64 s[6:7], s[6:7]
	s_cbranch_execz .LBB87_54
; %bb.51:
	v_cmp_gt_u32_e32 vcc, 4, v11
	s_and_b64 exec, exec, vcc
	s_cbranch_execz .LBB87_54
; %bb.52:
	v_lshl_or_b32 v0, s34, 4, v8
	s_lshl_b32 s4, s31, 4
	v_mul_u32_u24_e32 v1, s5, v43
	v_subrev_u32_e32 v0, s4, v0
	v_lshrrev_b32_e32 v4, 4, v42
	v_mul_lo_u32 v0, s20, v0
	v_add3_u32 v1, v1, v41, v4
	v_min_u32_e32 v3, s13, v12
	v_add_lshl_u32 v1, v1, v5, 4
	v_sub_u32_e32 v2, v9, v3
	v_lshl_add_u32 v1, s30, 8, v1
	v_lshlrev_b32_e32 v3, 2, v3
	s_add_i32 s12, s12, s21
	v_sub_u32_e32 v1, v1, v3
	v_add_u32_e32 v2, 3, v2
	v_add3_u32 v0, s12, v0, v10
	v_add_u32_e32 v3, 16, v1
	s_mov_b64 s[6:7], 0
	v_mov_b32_e32 v1, 0
	v_mov_b32_e32 v4, s17
.LBB87_53:                              ; =>This Inner Loop Header: Depth=1
	ds_read_b32 v7, v3
	v_lshlrev_b64 v[5:6], 2, v[0:1]
	v_add_u32_e32 v2, 1, v2
	v_cmp_lt_u32_e32 vcc, 2, v2
	v_add_co_u32_e64 v5, s[4:5], s16, v5
	v_add_u32_e32 v0, 1, v0
	v_add_u32_e32 v3, 4, v3
	v_addc_co_u32_e64 v6, s[4:5], v4, v6, s[4:5]
	s_or_b64 s[6:7], vcc, s[6:7]
	s_waitcnt lgkmcnt(0)
	global_store_dword v[5:6], v7, off
	s_andn2_b64 exec, exec, s[6:7]
	s_cbranch_execnz .LBB87_53
.LBB87_54:
	s_endpgm
	.section	.rodata,"a",@progbits
	.p2align	6, 0x0
	.amdhsa_kernel Transform_I32_S_101_16_16_VW_4
		.amdhsa_group_segment_fixed_size 16384
		.amdhsa_private_segment_fixed_size 64
		.amdhsa_kernarg_size 344
		.amdhsa_user_sgpr_count 10
		.amdhsa_user_sgpr_private_segment_buffer 1
		.amdhsa_user_sgpr_dispatch_ptr 1
		.amdhsa_user_sgpr_queue_ptr 0
		.amdhsa_user_sgpr_kernarg_segment_ptr 1
		.amdhsa_user_sgpr_dispatch_id 0
		.amdhsa_user_sgpr_flat_scratch_init 1
		.amdhsa_user_sgpr_private_segment_size 0
		.amdhsa_uses_dynamic_stack 0
		.amdhsa_system_sgpr_private_segment_wavefront_offset 1
		.amdhsa_system_sgpr_workgroup_id_x 1
		.amdhsa_system_sgpr_workgroup_id_y 0
		.amdhsa_system_sgpr_workgroup_id_z 1
		.amdhsa_system_sgpr_workgroup_info 0
		.amdhsa_system_vgpr_workitem_id 2
		.amdhsa_next_free_vgpr 44
		.amdhsa_next_free_sgpr 36
		.amdhsa_reserve_vcc 1
		.amdhsa_reserve_flat_scratch 1
		.amdhsa_float_round_mode_32 0
		.amdhsa_float_round_mode_16_64 0
		.amdhsa_float_denorm_mode_32 3
		.amdhsa_float_denorm_mode_16_64 3
		.amdhsa_dx10_clamp 1
		.amdhsa_ieee_mode 1
		.amdhsa_fp16_overflow 0
		.amdhsa_exception_fp_ieee_invalid_op 0
		.amdhsa_exception_fp_denorm_src 0
		.amdhsa_exception_fp_ieee_div_zero 0
		.amdhsa_exception_fp_ieee_overflow 0
		.amdhsa_exception_fp_ieee_underflow 0
		.amdhsa_exception_fp_ieee_inexact 0
		.amdhsa_exception_int_div_zero 0
	.end_amdhsa_kernel
	.text
.Lfunc_end87:
	.size	Transform_I32_S_101_16_16_VW_4, .Lfunc_end87-Transform_I32_S_101_16_16_VW_4
                                        ; -- End function
	.set Transform_I32_S_101_16_16_VW_4.num_vgpr, max(44, .L__assert_fail.num_vgpr)
	.set Transform_I32_S_101_16_16_VW_4.num_agpr, max(0, .L__assert_fail.num_agpr)
	.set Transform_I32_S_101_16_16_VW_4.numbered_sgpr, max(36, .L__assert_fail.numbered_sgpr)
	.set Transform_I32_S_101_16_16_VW_4.num_named_barrier, max(0, .L__assert_fail.num_named_barrier)
	.set Transform_I32_S_101_16_16_VW_4.private_seg_size, 0+max(.L__assert_fail.private_seg_size)
	.set Transform_I32_S_101_16_16_VW_4.uses_vcc, or(1, .L__assert_fail.uses_vcc)
	.set Transform_I32_S_101_16_16_VW_4.uses_flat_scratch, or(1, .L__assert_fail.uses_flat_scratch)
	.set Transform_I32_S_101_16_16_VW_4.has_dyn_sized_stack, or(0, .L__assert_fail.has_dyn_sized_stack)
	.set Transform_I32_S_101_16_16_VW_4.has_recursion, or(0, .L__assert_fail.has_recursion)
	.set Transform_I32_S_101_16_16_VW_4.has_indirect_call, or(0, .L__assert_fail.has_indirect_call)
	.section	.AMDGPU.csdata,"",@progbits
; Kernel info:
; codeLenInByte = 1760
; TotalNumSgprs: 42
; NumVgprs: 44
; ScratchSize: 64
; MemoryBound: 0
; FloatMode: 240
; IeeeMode: 1
; LDSByteSize: 16384 bytes/workgroup (compile time only)
; SGPRBlocks: 5
; VGPRBlocks: 10
; NumSGPRsForWavesPerEU: 42
; NumVGPRsForWavesPerEU: 44
; Occupancy: 5
; WaveLimiterHint : 1
; COMPUTE_PGM_RSRC2:SCRATCH_EN: 1
; COMPUTE_PGM_RSRC2:USER_SGPR: 10
; COMPUTE_PGM_RSRC2:TRAP_HANDLER: 0
; COMPUTE_PGM_RSRC2:TGID_X_EN: 1
; COMPUTE_PGM_RSRC2:TGID_Y_EN: 0
; COMPUTE_PGM_RSRC2:TGID_Z_EN: 1
; COMPUTE_PGM_RSRC2:TIDIG_COMP_CNT: 2
	.text
	.protected	Transform_I32_S_100_16_16_VW_1 ; -- Begin function Transform_I32_S_100_16_16_VW_1
	.globl	Transform_I32_S_100_16_16_VW_1
	.p2align	8
	.type	Transform_I32_S_100_16_16_VW_1,@function
Transform_I32_S_100_16_16_VW_1:         ; @Transform_I32_S_100_16_16_VW_1
; %bb.0:
	s_mov_b64 s[26:27], s[4:5]
	s_load_dword s4, s[4:5], 0x64
	s_add_u32 flat_scratch_lo, s6, s10
	s_addc_u32 flat_scratch_hi, s7, 0
	s_add_u32 s0, s0, s10
	s_addc_u32 s1, s1, 0
	s_waitcnt lgkmcnt(0)
	s_and_b32 s4, s4, 0xffff
	s_mov_b32 s28, s9
	s_mov_b32 s29, s8
	v_mov_b32_e32 v41, v0
	s_cmpk_eq_i32 s4, 0x100
	s_mov_b64 s[4:5], -1
	s_mov_b32 s32, 0
	s_cbranch_scc1 .LBB88_2
; %bb.1:
	s_add_u32 s8, s26, 0x58
	s_addc_u32 s9, s27, 0
	s_getpc_b64 s[4:5]
	s_add_u32 s4, s4, __PRETTY_FUNCTION__._ZN10amd_detail9transformIifLb1ELb0ELb0ELj16ELj16ELj1EEEvPT_PKS1_S4_T0_PKS5_S5_S7_jjjjjjbb@rel32@lo+4
	s_addc_u32 s5, s5, __PRETTY_FUNCTION__._ZN10amd_detail9transformIifLb1ELb0ELb0ELj16ELj16ELj1EEEvPT_PKS1_S4_T0_PKS5_S5_S7_jjjjjjbb@rel32@hi+12
	s_getpc_b64 s[6:7]
	s_add_u32 s6, s6, __assert_fail@rel32@lo+4
	s_addc_u32 s7, s7, __assert_fail@rel32@hi+12
	v_mov_b32_e32 v0, s4
	v_mov_b32_e32 v1, s5
	s_swappc_b64 s[30:31], s[6:7]
	s_mov_b64 s[4:5], 0
	; divergent unreachable
.LBB88_2:
	s_andn2_b64 vcc, exec, s[4:5]
	s_cbranch_vccnz .LBB88_13
; %bb.3:
	s_load_dwordx8 s[4:11], s[26:27], 0x38
	s_waitcnt lgkmcnt(0)
	s_lshr_b32 s11, s4, 4
	s_and_b32 s12, s4, 15
	s_cmp_lg_u32 s12, 0
	s_cselect_b64 s[12:13], -1, 0
	s_cmp_lg_u64 s[12:13], 0
	s_addc_u32 s11, s11, 0
	v_cvt_f32_u32_e32 v0, s11
	s_load_dword s15, s[26:27], 0x18
	s_load_dwordx2 s[12:13], s[26:27], 0x20
	s_sub_i32 s14, 0, s11
	v_rcp_iflag_f32_e32 v0, v0
	v_mul_f32_e32 v0, 0x4f7ffffe, v0
	v_cvt_u32_f32_e32 v0, v0
	v_readfirstlane_b32 s16, v0
	s_mul_i32 s14, s14, s16
	s_mul_hi_u32 s14, s16, s14
	s_add_i32 s16, s16, s14
	s_mul_hi_u32 s14, s29, s16
	s_waitcnt lgkmcnt(0)
	s_cmp_eq_u64 s[12:13], 0
	v_mov_b32_e32 v0, s15
	s_cbranch_scc1 .LBB88_5
; %bb.4:
	v_mov_b32_e32 v0, 0
	global_load_dword v0, v0, s[12:13]
.LBB88_5:
	s_load_dwordx2 s[12:13], s[26:27], 0x30
	s_load_dword s15, s[26:27], 0x28
	s_waitcnt lgkmcnt(0)
	s_cmp_eq_u64 s[12:13], 0
	v_mov_b32_e32 v1, s15
	s_cbranch_scc1 .LBB88_7
; %bb.6:
	v_mov_b32_e32 v1, 0
	global_load_dword v1, v1, s[12:13]
.LBB88_7:
	s_mul_i32 s12, s14, s11
	s_sub_i32 s12, s29, s12
	s_add_i32 s13, s14, 1
	s_sub_i32 s15, s12, s11
	s_cmp_ge_u32 s12, s11
	s_cselect_b32 s13, s13, s14
	s_cselect_b32 s12, s15, s12
	s_add_i32 s14, s13, 1
	s_cmp_ge_u32 s12, s11
	s_cselect_b32 s12, s14, s13
	s_mul_i32 s11, s12, s11
	s_sub_i32 s11, s29, s11
	v_and_b32_e32 v2, 15, v41
	v_lshrrev_b32_e32 v3, 4, v41
	v_lshl_or_b32 v2, s11, 4, v2
	v_lshl_add_u32 v3, s12, 4, v3
	v_cmp_gt_u32_e32 vcc, s4, v2
	v_cmp_gt_u32_e64 s[4:5], s5, v3
	s_and_b64 s[4:5], vcc, s[4:5]
	s_and_saveexec_b64 s[12:13], s[4:5]
	s_cbranch_execz .LBB88_13
; %bb.8:
	s_load_dwordx4 s[12:15], s[26:27], 0x0
	s_load_dwordx2 s[4:5], s[26:27], 0x10
	s_mul_i32 s9, s9, s28
	v_mov_b32_e32 v5, 0
	v_mov_b32_e32 v4, 0
	s_waitcnt lgkmcnt(0)
	s_cmp_eq_u64 s[14:15], 0
	s_cbranch_scc1 .LBB88_10
; %bb.9:
	s_bitcmp1_b32 s10, 0
	s_cselect_b64 vcc, -1, 0
	v_cndmask_b32_e32 v4, v2, v3, vcc
	v_mul_lo_u32 v4, v4, s6
	v_cndmask_b32_e32 v6, v3, v2, vcc
	v_mov_b32_e32 v7, 0
	v_add3_u32 v6, v6, s9, v4
	v_lshlrev_b64 v[6:7], 2, v[6:7]
	v_mov_b32_e32 v4, s15
	v_add_co_u32_e32 v6, vcc, s14, v6
	v_addc_co_u32_e32 v7, vcc, v4, v7, vcc
	global_load_dword v4, v[6:7], off
	s_waitcnt vmcnt(0)
	v_cvt_f32_i32_e32 v4, v4
.LBB88_10:
	s_cmp_eq_u64 s[4:5], 0
	s_cbranch_scc1 .LBB88_12
; %bb.11:
	s_load_dword s6, s[26:27], 0x50
	v_mov_b32_e32 v6, 0
	v_mov_b32_e32 v7, s5
	s_waitcnt lgkmcnt(0)
	s_bitcmp1_b32 s6, 8
	s_cselect_b64 vcc, -1, 0
	v_cndmask_b32_e32 v5, v3, v2, vcc
	v_mul_lo_u32 v5, v5, s7
	v_cndmask_b32_e32 v8, v2, v3, vcc
	v_add3_u32 v5, v8, s9, v5
	v_lshlrev_b64 v[5:6], 2, v[5:6]
	v_add_co_u32_e32 v5, vcc, s4, v5
	v_addc_co_u32_e32 v6, vcc, v7, v6, vcc
	global_load_dword v5, v[5:6], off
	s_waitcnt vmcnt(0)
	v_cvt_f32_i32_e32 v5, v5
.LBB88_12:
	v_mul_lo_u32 v3, v3, s8
	s_waitcnt vmcnt(0)
	v_mul_f32_e32 v1, v1, v5
	v_fmac_f32_e32 v1, v0, v4
	v_cvt_i32_f32_e32 v4, v1
	v_add3_u32 v0, v2, s9, v3
	v_mov_b32_e32 v1, 0
	v_lshlrev_b64 v[0:1], 2, v[0:1]
	v_mov_b32_e32 v2, s13
	v_add_co_u32_e32 v0, vcc, s12, v0
	v_addc_co_u32_e32 v1, vcc, v2, v1, vcc
	global_store_dword v[0:1], v4, off
.LBB88_13:
	s_endpgm
	.section	.rodata,"a",@progbits
	.p2align	6, 0x0
	.amdhsa_kernel Transform_I32_S_100_16_16_VW_1
		.amdhsa_group_segment_fixed_size 0
		.amdhsa_private_segment_fixed_size 64
		.amdhsa_kernarg_size 344
		.amdhsa_user_sgpr_count 8
		.amdhsa_user_sgpr_private_segment_buffer 1
		.amdhsa_user_sgpr_dispatch_ptr 0
		.amdhsa_user_sgpr_queue_ptr 0
		.amdhsa_user_sgpr_kernarg_segment_ptr 1
		.amdhsa_user_sgpr_dispatch_id 0
		.amdhsa_user_sgpr_flat_scratch_init 1
		.amdhsa_user_sgpr_private_segment_size 0
		.amdhsa_uses_dynamic_stack 0
		.amdhsa_system_sgpr_private_segment_wavefront_offset 1
		.amdhsa_system_sgpr_workgroup_id_x 1
		.amdhsa_system_sgpr_workgroup_id_y 0
		.amdhsa_system_sgpr_workgroup_id_z 1
		.amdhsa_system_sgpr_workgroup_info 0
		.amdhsa_system_vgpr_workitem_id 0
		.amdhsa_next_free_vgpr 42
		.amdhsa_next_free_sgpr 34
		.amdhsa_reserve_vcc 1
		.amdhsa_reserve_flat_scratch 1
		.amdhsa_float_round_mode_32 0
		.amdhsa_float_round_mode_16_64 0
		.amdhsa_float_denorm_mode_32 3
		.amdhsa_float_denorm_mode_16_64 3
		.amdhsa_dx10_clamp 1
		.amdhsa_ieee_mode 1
		.amdhsa_fp16_overflow 0
		.amdhsa_exception_fp_ieee_invalid_op 0
		.amdhsa_exception_fp_denorm_src 0
		.amdhsa_exception_fp_ieee_div_zero 0
		.amdhsa_exception_fp_ieee_overflow 0
		.amdhsa_exception_fp_ieee_underflow 0
		.amdhsa_exception_fp_ieee_inexact 0
		.amdhsa_exception_int_div_zero 0
	.end_amdhsa_kernel
	.text
.Lfunc_end88:
	.size	Transform_I32_S_100_16_16_VW_1, .Lfunc_end88-Transform_I32_S_100_16_16_VW_1
                                        ; -- End function
	.set Transform_I32_S_100_16_16_VW_1.num_vgpr, max(42, .L__assert_fail.num_vgpr)
	.set Transform_I32_S_100_16_16_VW_1.num_agpr, max(0, .L__assert_fail.num_agpr)
	.set Transform_I32_S_100_16_16_VW_1.numbered_sgpr, max(33, .L__assert_fail.numbered_sgpr)
	.set Transform_I32_S_100_16_16_VW_1.num_named_barrier, max(0, .L__assert_fail.num_named_barrier)
	.set Transform_I32_S_100_16_16_VW_1.private_seg_size, 0+max(.L__assert_fail.private_seg_size)
	.set Transform_I32_S_100_16_16_VW_1.uses_vcc, or(1, .L__assert_fail.uses_vcc)
	.set Transform_I32_S_100_16_16_VW_1.uses_flat_scratch, or(1, .L__assert_fail.uses_flat_scratch)
	.set Transform_I32_S_100_16_16_VW_1.has_dyn_sized_stack, or(0, .L__assert_fail.has_dyn_sized_stack)
	.set Transform_I32_S_100_16_16_VW_1.has_recursion, or(0, .L__assert_fail.has_recursion)
	.set Transform_I32_S_100_16_16_VW_1.has_indirect_call, or(0, .L__assert_fail.has_indirect_call)
	.section	.AMDGPU.csdata,"",@progbits
; Kernel info:
; codeLenInByte = 680
; TotalNumSgprs: 40
; NumVgprs: 42
; ScratchSize: 64
; MemoryBound: 0
; FloatMode: 240
; IeeeMode: 1
; LDSByteSize: 0 bytes/workgroup (compile time only)
; SGPRBlocks: 4
; VGPRBlocks: 10
; NumSGPRsForWavesPerEU: 40
; NumVGPRsForWavesPerEU: 42
; Occupancy: 5
; WaveLimiterHint : 1
; COMPUTE_PGM_RSRC2:SCRATCH_EN: 1
; COMPUTE_PGM_RSRC2:USER_SGPR: 8
; COMPUTE_PGM_RSRC2:TRAP_HANDLER: 0
; COMPUTE_PGM_RSRC2:TGID_X_EN: 1
; COMPUTE_PGM_RSRC2:TGID_Y_EN: 0
; COMPUTE_PGM_RSRC2:TGID_Z_EN: 1
; COMPUTE_PGM_RSRC2:TIDIG_COMP_CNT: 0
	.text
	.protected	Transform_I32_S_100_16_16_VW_4 ; -- Begin function Transform_I32_S_100_16_16_VW_4
	.globl	Transform_I32_S_100_16_16_VW_4
	.p2align	8
	.type	Transform_I32_S_100_16_16_VW_4,@function
Transform_I32_S_100_16_16_VW_4:         ; @Transform_I32_S_100_16_16_VW_4
; %bb.0:
	s_mov_b64 s[26:27], s[4:5]
	s_load_dword s4, s[6:7], 0x64
	s_add_u32 flat_scratch_lo, s8, s12
	s_addc_u32 flat_scratch_hi, s9, 0
	s_add_u32 s0, s0, s12
	s_addc_u32 s1, s1, 0
	s_waitcnt lgkmcnt(0)
	s_and_b32 s4, s4, 0xffff
	s_mov_b32 s35, s11
	s_mov_b32 s34, s10
	s_mov_b64 s[28:29], s[6:7]
	v_mov_b32_e32 v41, v2
	v_mov_b32_e32 v43, v1
	;; [unrolled: 1-line block ×3, first 2 shown]
	s_cmpk_eq_i32 s4, 0x100
	s_mov_b64 s[4:5], -1
	s_mov_b32 s32, 0
	s_cbranch_scc1 .LBB89_2
; %bb.1:
	s_add_u32 s8, s28, 0x58
	s_addc_u32 s9, s29, 0
	s_getpc_b64 s[4:5]
	s_add_u32 s4, s4, __PRETTY_FUNCTION__._ZN10amd_detail9transformIifLb1ELb0ELb0ELj16ELj16ELj4EEEvPT_PKS1_S4_T0_PKS5_S5_S7_jjjjjjbb@rel32@lo+4
	s_addc_u32 s5, s5, __PRETTY_FUNCTION__._ZN10amd_detail9transformIifLb1ELb0ELb0ELj16ELj16ELj4EEEvPT_PKS1_S4_T0_PKS5_S5_S7_jjjjjjbb@rel32@hi+12
	s_getpc_b64 s[6:7]
	s_add_u32 s6, s6, __assert_fail@rel32@lo+4
	s_addc_u32 s7, s7, __assert_fail@rel32@hi+12
	v_mov_b32_e32 v0, s4
	v_mov_b32_e32 v1, s5
	s_swappc_b64 s[30:31], s[6:7]
	s_mov_b64 s[4:5], 0
	; divergent unreachable
.LBB89_2:
	s_andn2_b64 vcc, exec, s[4:5]
	s_cbranch_vccnz .LBB89_54
; %bb.3:
	s_load_dwordx8 s[12:19], s[28:29], 0x38
	s_waitcnt lgkmcnt(0)
	s_lshr_b32 s6, s12, 6
	s_and_b32 s4, s12, 63
	s_cmp_lg_u32 s4, 0
	s_cselect_b64 s[4:5], -1, 0
	s_cmp_lg_u64 s[4:5], 0
	s_addc_u32 s6, s6, 0
	v_cvt_f32_u32_e32 v0, s6
	s_load_dword s8, s[28:29], 0x18
	s_load_dwordx2 s[4:5], s[28:29], 0x20
	s_sub_i32 s7, 0, s6
	v_rcp_iflag_f32_e32 v0, v0
	s_waitcnt lgkmcnt(0)
	v_mov_b32_e32 v3, s8
	v_mul_f32_e32 v0, 0x4f7ffffe, v0
	v_cvt_u32_f32_e32 v0, v0
	v_readfirstlane_b32 s9, v0
	s_mul_i32 s7, s7, s9
	s_mul_hi_u32 s7, s9, s7
	s_add_i32 s9, s9, s7
	s_mul_hi_u32 s7, s34, s9
	s_cmp_eq_u64 s[4:5], 0
	s_cbranch_scc1 .LBB89_5
; %bb.4:
	v_mov_b32_e32 v0, 0
	global_load_dword v3, v0, s[4:5]
.LBB89_5:
	s_load_dwordx2 s[4:5], s[28:29], 0x30
	s_load_dword s8, s[28:29], 0x28
	s_waitcnt lgkmcnt(0)
	s_cmp_eq_u64 s[4:5], 0
	v_mov_b32_e32 v10, s8
	s_cbranch_scc1 .LBB89_7
; %bb.6:
	v_mov_b32_e32 v0, 0
	global_load_dword v10, v0, s[4:5]
.LBB89_7:
	s_mul_i32 s4, s7, s6
	s_sub_i32 s4, s34, s4
	s_add_i32 s5, s7, 1
	s_sub_i32 s8, s4, s6
	s_cmp_ge_u32 s4, s6
	s_cselect_b32 s5, s5, s7
	s_cselect_b32 s4, s8, s4
	s_add_i32 s7, s5, 1
	s_cmp_ge_u32 s4, s6
	s_cselect_b32 s4, s7, s5
	v_lshrrev_b32_e32 v0, 4, v42
	v_lshl_add_u32 v4, s4, 4, v0
	v_cmp_gt_u32_e32 vcc, s13, v4
	s_and_saveexec_b64 s[8:9], vcc
	s_cbranch_execz .LBB89_54
; %bb.8:
	s_mul_i32 s13, s4, s6
	v_lshlrev_b32_e32 v0, 2, v42
	s_sub_i32 s4, s34, s13
	v_and_b32_e32 v8, 60, v0
	v_lshl_or_b32 v11, s4, 6, v8
	v_add_u32_e32 v12, 4, v11
	s_load_dwordx4 s[20:23], s[28:29], 0x0
	s_load_dwordx2 s[24:25], s[28:29], 0x10
	v_sub_u32_e64 v9, v12, s12 clamp
	v_sub_u32_e32 v2, v11, v9
	s_waitcnt vmcnt(0)
	v_mad_u64_u32 v[0:1], s[4:5], v4, s14, v[2:3]
	s_bitcmp1_b32 s18, 0
	s_cselect_b64 vcc, -1, 0
	s_waitcnt lgkmcnt(0)
	s_cmp_lg_u64 s[22:23], 0
	s_mul_i32 s17, s17, s35
	s_cselect_b64 s[10:11], -1, 0
	s_cmp_eq_u64 s[22:23], 0
	v_mov_b32_e32 v14, 0
	v_mov_b32_e32 v13, 0
	s_cbranch_scc1 .LBB89_10
; %bb.9:
	v_mad_u64_u32 v[5:6], s[4:5], v2, s14, v[4:5]
	v_mov_b32_e32 v6, 0
	v_mov_b32_e32 v1, s23
	v_cndmask_b32_e32 v5, v5, v0, vcc
	v_add_u32_e32 v5, s17, v5
	v_lshlrev_b64 v[5:6], 2, v[5:6]
	v_add_co_u32_e64 v5, s[4:5], s22, v5
	v_addc_co_u32_e64 v6, s[4:5], v1, v6, s[4:5]
	global_load_dword v1, v[5:6], off
	s_waitcnt vmcnt(0)
	v_cvt_f32_i32_e32 v13, v1
.LBB89_10:
	s_load_dword s6, s[28:29], 0x50
	s_xor_b64 s[8:9], vcc, -1
	v_mad_u64_u32 v[5:6], s[4:5], v4, s15, v[2:3]
	v_mul_lo_u32 v15, v2, s15
	s_waitcnt lgkmcnt(0)
	s_bitcmp1_b32 s6, 8
	s_cselect_b64 s[6:7], -1, 0
	s_cmp_lg_u64 s[24:25], 0
	s_cselect_b64 s[18:19], -1, 0
	s_cmp_eq_u64 s[24:25], 0
	s_cbranch_scc1 .LBB89_12
; %bb.11:
	v_add_u32_e32 v1, v15, v4
	v_cndmask_b32_e64 v1, v5, v1, s[6:7]
	v_add_u32_e32 v6, s17, v1
	v_mov_b32_e32 v7, 0
	v_lshlrev_b64 v[6:7], 2, v[6:7]
	v_mov_b32_e32 v1, s25
	v_add_co_u32_e32 v6, vcc, s24, v6
	v_addc_co_u32_e32 v7, vcc, v1, v7, vcc
	global_load_dword v1, v[6:7], off
	s_waitcnt vmcnt(0)
	v_cvt_f32_i32_e32 v14, v1
.LBB89_12:
	v_cndmask_b32_e64 v1, 0, 1, s[8:9]
	v_cmp_ne_u32_e64 s[4:5], 1, v1
	s_andn2_b64 vcc, exec, s[8:9]
	s_cbranch_vccnz .LBB89_14
; %bb.13:
	v_mul_lo_u32 v1, s14, v2
	v_add3_u32 v1, v1, s14, v4
	s_xor_b64 s[8:9], s[6:7], -1
	s_cbranch_execz .LBB89_15
	s_branch .LBB89_16
.LBB89_14:
                                        ; implicit-def: $vgpr1
	s_xor_b64 s[8:9], s[6:7], -1
.LBB89_15:
	v_add_u32_e32 v1, 1, v0
.LBB89_16:
	v_cndmask_b32_e64 v6, 0, 1, s[8:9]
	v_cmp_ne_u32_e64 s[6:7], 1, v6
	s_andn2_b64 vcc, exec, s[8:9]
	s_cbranch_vccnz .LBB89_18
; %bb.17:
	v_add_u32_e32 v6, 1, v5
	s_cbranch_execz .LBB89_19
	s_branch .LBB89_20
.LBB89_18:
                                        ; implicit-def: $vgpr6
.LBB89_19:
	v_add3_u32 v6, v15, s15, v4
.LBB89_20:
	v_cndmask_b32_e64 v7, 0, 1, s[10:11]
	v_mov_b32_e32 v17, 0
	v_cmp_ne_u32_e64 s[8:9], 1, v7
	s_andn2_b64 vcc, exec, s[10:11]
	v_mov_b32_e32 v16, 0
	s_cbranch_vccnz .LBB89_22
; %bb.21:
	v_add_u32_e32 v18, s17, v1
	v_mov_b32_e32 v19, 0
	v_lshlrev_b64 v[18:19], 2, v[18:19]
	v_mov_b32_e32 v1, s23
	v_add_co_u32_e32 v18, vcc, s22, v18
	v_addc_co_u32_e32 v19, vcc, v1, v19, vcc
	global_load_dword v1, v[18:19], off
	s_waitcnt vmcnt(0)
	v_cvt_f32_i32_e32 v16, v1
.LBB89_22:
	v_cndmask_b32_e64 v1, 0, 1, s[18:19]
	v_cmp_ne_u32_e64 s[10:11], 1, v1
	s_andn2_b64 vcc, exec, s[18:19]
	s_cbranch_vccnz .LBB89_24
; %bb.23:
	v_add_u32_e32 v6, s17, v6
	v_mov_b32_e32 v7, 0
	v_lshlrev_b64 v[6:7], 2, v[6:7]
	v_mov_b32_e32 v1, s25
	v_add_co_u32_e32 v6, vcc, s24, v6
	v_addc_co_u32_e32 v7, vcc, v1, v7, vcc
	global_load_dword v1, v[6:7], off
	s_waitcnt vmcnt(0)
	v_cvt_f32_i32_e32 v17, v1
.LBB89_24:
	s_and_b64 vcc, exec, s[4:5]
	s_cbranch_vccnz .LBB89_26
; %bb.25:
	v_add_u32_e32 v1, 2, v2
	v_mad_u64_u32 v[6:7], s[18:19], v1, s14, v[4:5]
	s_cbranch_execz .LBB89_27
	s_branch .LBB89_28
.LBB89_26:
                                        ; implicit-def: $vgpr6
.LBB89_27:
	v_add_u32_e32 v6, 2, v0
.LBB89_28:
	s_and_b64 vcc, exec, s[6:7]
	s_cbranch_vccnz .LBB89_30
; %bb.29:
	v_add_u32_e32 v1, 2, v5
	s_cbranch_execz .LBB89_31
	s_branch .LBB89_32
.LBB89_30:
                                        ; implicit-def: $vgpr1
.LBB89_31:
	s_lshl_b32 s18, s15, 1
	v_add3_u32 v1, v15, s18, v4
.LBB89_32:
	v_mov_b32_e32 v18, 0
	s_and_b64 vcc, exec, s[8:9]
	v_mov_b32_e32 v7, 0
	s_cbranch_vccnz .LBB89_34
; %bb.33:
	v_add_u32_e32 v6, s17, v6
	v_mov_b32_e32 v7, 0
	v_lshlrev_b64 v[6:7], 2, v[6:7]
	v_mov_b32_e32 v19, s23
	v_add_co_u32_e32 v6, vcc, s22, v6
	v_addc_co_u32_e32 v7, vcc, v19, v7, vcc
	global_load_dword v6, v[6:7], off
	s_waitcnt vmcnt(0)
	v_cvt_f32_i32_e32 v7, v6
.LBB89_34:
	s_and_b64 vcc, exec, s[10:11]
	s_cbranch_vccnz .LBB89_36
; %bb.35:
	v_add_u32_e32 v18, s17, v1
	v_mov_b32_e32 v19, 0
	v_lshlrev_b64 v[18:19], 2, v[18:19]
	v_mov_b32_e32 v1, s25
	v_add_co_u32_e32 v18, vcc, s24, v18
	v_addc_co_u32_e32 v19, vcc, v1, v19, vcc
	global_load_dword v1, v[18:19], off
	s_waitcnt vmcnt(0)
	v_cvt_f32_i32_e32 v18, v1
.LBB89_36:
	s_and_b64 vcc, exec, s[4:5]
	s_cbranch_vccnz .LBB89_38
; %bb.37:
	v_add_u32_e32 v1, 3, v2
	v_mad_u64_u32 v[1:2], s[4:5], v1, s14, v[4:5]
	s_cbranch_execz .LBB89_39
	s_branch .LBB89_40
.LBB89_38:
                                        ; implicit-def: $vgpr1
.LBB89_39:
	v_add_u32_e32 v1, 3, v0
.LBB89_40:
	s_and_b64 vcc, exec, s[6:7]
	s_cbranch_vccnz .LBB89_42
; %bb.41:
	v_add_u32_e32 v0, 3, v5
	s_cbranch_execz .LBB89_43
	s_branch .LBB89_44
.LBB89_42:
                                        ; implicit-def: $vgpr0
.LBB89_43:
	s_mul_i32 s4, s15, 3
	v_add3_u32 v0, v15, s4, v4
.LBB89_44:
	v_mov_b32_e32 v15, 0
	s_and_b64 vcc, exec, s[8:9]
	v_mov_b32_e32 v6, 0
	s_cbranch_vccnz .LBB89_46
; %bb.45:
	v_add_u32_e32 v1, s17, v1
	v_mov_b32_e32 v2, 0
	v_lshlrev_b64 v[1:2], 2, v[1:2]
	v_mov_b32_e32 v5, s23
	v_add_co_u32_e32 v1, vcc, s22, v1
	v_addc_co_u32_e32 v2, vcc, v5, v2, vcc
	global_load_dword v1, v[1:2], off
	s_waitcnt vmcnt(0)
	v_cvt_f32_i32_e32 v6, v1
.LBB89_46:
	s_and_b64 vcc, exec, s[10:11]
	s_cbranch_vccnz .LBB89_48
; %bb.47:
	v_add_u32_e32 v0, s17, v0
	v_mov_b32_e32 v1, 0
	v_lshlrev_b64 v[0:1], 2, v[0:1]
	v_mov_b32_e32 v2, s25
	v_add_co_u32_e32 v0, vcc, s24, v0
	v_addc_co_u32_e32 v1, vcc, v2, v1, vcc
	global_load_dword v0, v[0:1], off
	s_waitcnt vmcnt(0)
	v_cvt_f32_i32_e32 v15, v0
.LBB89_48:
	s_load_dwordx2 s[4:5], s[26:27], 0x4
	v_mul_f32_e32 v2, v10, v18
	v_mul_f32_e32 v0, v10, v14
	;; [unrolled: 1-line block ×3, first 2 shown]
	v_fmac_f32_e32 v2, v3, v7
	s_waitcnt lgkmcnt(0)
	s_lshr_b32 s4, s4, 16
	s_mul_i32 s4, s4, s5
	v_mul_lo_u32 v5, s4, v42
	v_mul_f32_e32 v7, v10, v15
	v_fmac_f32_e32 v0, v3, v13
	v_fmac_f32_e32 v1, v3, v16
	;; [unrolled: 1-line block ×3, first 2 shown]
	v_cvt_i32_f32_e32 v0, v0
	v_cvt_i32_f32_e32 v1, v1
	;; [unrolled: 1-line block ×4, first 2 shown]
	v_mul_lo_u32 v4, v4, s16
	v_mad_u32_u24 v6, v43, s5, v5
	v_add_lshl_u32 v6, v6, v41, 4
	v_cmp_ge_u32_e32 vcc, s12, v12
	ds_write_b128 v6, v[0:3]
	s_and_saveexec_b64 s[6:7], vcc
	s_xor_b64 s[6:7], exec, s[6:7]
	s_cbranch_execz .LBB89_50
; %bb.49:
	v_add_u32_e32 v5, s17, v11
	v_sub_u32_e32 v5, v5, v9
	v_add_u32_e32 v4, v5, v4
	v_mov_b32_e32 v5, 0
	v_lshlrev_b64 v[6:7], 2, v[4:5]
	v_mov_b32_e32 v8, s21
	v_add_co_u32_e32 v6, vcc, s20, v6
	v_addc_co_u32_e32 v7, vcc, v8, v7, vcc
	global_store_dword v[6:7], v0, off
	v_add_u32_e32 v6, 1, v4
	v_mov_b32_e32 v7, v5
	v_lshlrev_b64 v[6:7], 2, v[6:7]
	v_mov_b32_e32 v0, s21
	v_add_co_u32_e32 v6, vcc, s20, v6
	v_addc_co_u32_e32 v7, vcc, v0, v7, vcc
	global_store_dword v[6:7], v1, off
	v_add_u32_e32 v0, 2, v4
	v_mov_b32_e32 v1, v5
	v_lshlrev_b64 v[0:1], 2, v[0:1]
	v_mov_b32_e32 v6, s21
	v_add_co_u32_e32 v0, vcc, s20, v0
	v_addc_co_u32_e32 v1, vcc, v6, v1, vcc
	v_add_u32_e32 v4, 3, v4
	global_store_dword v[0:1], v2, off
	v_lshlrev_b64 v[0:1], 2, v[4:5]
	v_mov_b32_e32 v2, s21
	v_add_co_u32_e32 v0, vcc, s20, v0
	v_addc_co_u32_e32 v1, vcc, v2, v1, vcc
	global_store_dword v[0:1], v3, off
                                        ; implicit-def: $vgpr9
                                        ; implicit-def: $vgpr43
                                        ; implicit-def: $vgpr8
                                        ; implicit-def: $vgpr4
                                        ; implicit-def: $vgpr41
                                        ; implicit-def: $vgpr5
                                        ; implicit-def: $vgpr42
.LBB89_50:
	s_andn2_saveexec_b64 s[6:7], s[6:7]
	s_cbranch_execz .LBB89_54
; %bb.51:
	v_cmp_gt_u32_e32 vcc, 4, v9
	s_and_b64 exec, exec, vcc
	s_cbranch_execz .LBB89_54
; %bb.52:
	v_mul_u32_u24_e32 v1, s5, v43
	v_lshl_or_b32 v0, s34, 6, v8
	s_lshl_b32 s4, s13, 6
	v_subrev_u32_e32 v2, s4, v0
	v_add3_u32 v0, s17, v4, v0
	v_add3_u32 v1, v1, v41, v5
	v_and_b32_e32 v4, 15, v42
	v_add_u32_e32 v3, 4, v2
	v_add_lshl_u32 v1, v1, v4, 4
	v_min_u32_e32 v3, s12, v3
	v_subrev_u32_e32 v0, s4, v0
	v_lshl_add_u32 v1, s34, 8, v1
	s_lshl_b32 s4, s13, 8
	v_sub_u32_e32 v2, v2, v3
	v_subrev_u32_e32 v1, s4, v1
	v_lshlrev_b32_e32 v3, 2, v3
	v_sub_u32_e32 v1, v1, v3
	v_add_u32_e32 v2, 3, v2
	v_add_u32_e32 v3, 16, v1
	s_mov_b64 s[6:7], 0
	v_mov_b32_e32 v1, 0
	v_mov_b32_e32 v4, s21
.LBB89_53:                              ; =>This Inner Loop Header: Depth=1
	ds_read_b32 v7, v3
	v_lshlrev_b64 v[5:6], 2, v[0:1]
	v_add_u32_e32 v2, 1, v2
	v_cmp_lt_u32_e32 vcc, 2, v2
	v_add_co_u32_e64 v5, s[4:5], s20, v5
	v_add_u32_e32 v0, 1, v0
	v_add_u32_e32 v3, 4, v3
	v_addc_co_u32_e64 v6, s[4:5], v4, v6, s[4:5]
	s_or_b64 s[6:7], vcc, s[6:7]
	s_waitcnt lgkmcnt(0)
	global_store_dword v[5:6], v7, off
	s_andn2_b64 exec, exec, s[6:7]
	s_cbranch_execnz .LBB89_53
.LBB89_54:
	s_endpgm
	.section	.rodata,"a",@progbits
	.p2align	6, 0x0
	.amdhsa_kernel Transform_I32_S_100_16_16_VW_4
		.amdhsa_group_segment_fixed_size 16384
		.amdhsa_private_segment_fixed_size 64
		.amdhsa_kernarg_size 344
		.amdhsa_user_sgpr_count 10
		.amdhsa_user_sgpr_private_segment_buffer 1
		.amdhsa_user_sgpr_dispatch_ptr 1
		.amdhsa_user_sgpr_queue_ptr 0
		.amdhsa_user_sgpr_kernarg_segment_ptr 1
		.amdhsa_user_sgpr_dispatch_id 0
		.amdhsa_user_sgpr_flat_scratch_init 1
		.amdhsa_user_sgpr_private_segment_size 0
		.amdhsa_uses_dynamic_stack 0
		.amdhsa_system_sgpr_private_segment_wavefront_offset 1
		.amdhsa_system_sgpr_workgroup_id_x 1
		.amdhsa_system_sgpr_workgroup_id_y 0
		.amdhsa_system_sgpr_workgroup_id_z 1
		.amdhsa_system_sgpr_workgroup_info 0
		.amdhsa_system_vgpr_workitem_id 2
		.amdhsa_next_free_vgpr 44
		.amdhsa_next_free_sgpr 36
		.amdhsa_reserve_vcc 1
		.amdhsa_reserve_flat_scratch 1
		.amdhsa_float_round_mode_32 0
		.amdhsa_float_round_mode_16_64 0
		.amdhsa_float_denorm_mode_32 3
		.amdhsa_float_denorm_mode_16_64 3
		.amdhsa_dx10_clamp 1
		.amdhsa_ieee_mode 1
		.amdhsa_fp16_overflow 0
		.amdhsa_exception_fp_ieee_invalid_op 0
		.amdhsa_exception_fp_denorm_src 0
		.amdhsa_exception_fp_ieee_div_zero 0
		.amdhsa_exception_fp_ieee_overflow 0
		.amdhsa_exception_fp_ieee_underflow 0
		.amdhsa_exception_fp_ieee_inexact 0
		.amdhsa_exception_int_div_zero 0
	.end_amdhsa_kernel
	.text
.Lfunc_end89:
	.size	Transform_I32_S_100_16_16_VW_4, .Lfunc_end89-Transform_I32_S_100_16_16_VW_4
                                        ; -- End function
	.set Transform_I32_S_100_16_16_VW_4.num_vgpr, max(44, .L__assert_fail.num_vgpr)
	.set Transform_I32_S_100_16_16_VW_4.num_agpr, max(0, .L__assert_fail.num_agpr)
	.set Transform_I32_S_100_16_16_VW_4.numbered_sgpr, max(36, .L__assert_fail.numbered_sgpr)
	.set Transform_I32_S_100_16_16_VW_4.num_named_barrier, max(0, .L__assert_fail.num_named_barrier)
	.set Transform_I32_S_100_16_16_VW_4.private_seg_size, 0+max(.L__assert_fail.private_seg_size)
	.set Transform_I32_S_100_16_16_VW_4.uses_vcc, or(1, .L__assert_fail.uses_vcc)
	.set Transform_I32_S_100_16_16_VW_4.uses_flat_scratch, or(1, .L__assert_fail.uses_flat_scratch)
	.set Transform_I32_S_100_16_16_VW_4.has_dyn_sized_stack, or(0, .L__assert_fail.has_dyn_sized_stack)
	.set Transform_I32_S_100_16_16_VW_4.has_recursion, or(0, .L__assert_fail.has_recursion)
	.set Transform_I32_S_100_16_16_VW_4.has_indirect_call, or(0, .L__assert_fail.has_indirect_call)
	.section	.AMDGPU.csdata,"",@progbits
; Kernel info:
; codeLenInByte = 1748
; TotalNumSgprs: 42
; NumVgprs: 44
; ScratchSize: 64
; MemoryBound: 0
; FloatMode: 240
; IeeeMode: 1
; LDSByteSize: 16384 bytes/workgroup (compile time only)
; SGPRBlocks: 5
; VGPRBlocks: 10
; NumSGPRsForWavesPerEU: 42
; NumVGPRsForWavesPerEU: 44
; Occupancy: 5
; WaveLimiterHint : 1
; COMPUTE_PGM_RSRC2:SCRATCH_EN: 1
; COMPUTE_PGM_RSRC2:USER_SGPR: 10
; COMPUTE_PGM_RSRC2:TRAP_HANDLER: 0
; COMPUTE_PGM_RSRC2:TGID_X_EN: 1
; COMPUTE_PGM_RSRC2:TGID_Y_EN: 0
; COMPUTE_PGM_RSRC2:TGID_Z_EN: 1
; COMPUTE_PGM_RSRC2:TIDIG_COMP_CNT: 2
	.text
	.protected	Transform_I32_S_011_16_16_VW_1 ; -- Begin function Transform_I32_S_011_16_16_VW_1
	.globl	Transform_I32_S_011_16_16_VW_1
	.p2align	8
	.type	Transform_I32_S_011_16_16_VW_1,@function
Transform_I32_S_011_16_16_VW_1:         ; @Transform_I32_S_011_16_16_VW_1
; %bb.0:
	s_mov_b64 s[26:27], s[4:5]
	s_load_dword s4, s[4:5], 0x64
	s_add_u32 flat_scratch_lo, s6, s10
	s_addc_u32 flat_scratch_hi, s7, 0
	s_add_u32 s0, s0, s10
	s_addc_u32 s1, s1, 0
	s_waitcnt lgkmcnt(0)
	s_and_b32 s4, s4, 0xffff
	s_mov_b32 s28, s9
	s_mov_b32 s29, s8
	v_mov_b32_e32 v41, v0
	s_cmpk_eq_i32 s4, 0x100
	s_mov_b64 s[4:5], -1
	s_mov_b32 s32, 0
	s_cbranch_scc1 .LBB90_2
; %bb.1:
	s_add_u32 s8, s26, 0x58
	s_addc_u32 s9, s27, 0
	s_getpc_b64 s[4:5]
	s_add_u32 s4, s4, __PRETTY_FUNCTION__._ZN10amd_detail9transformIifLb0ELb1ELb1ELj16ELj16ELj1EEEvPT_PKS1_S4_T0_PKS5_S5_S7_jjjjjjbb@rel32@lo+4
	s_addc_u32 s5, s5, __PRETTY_FUNCTION__._ZN10amd_detail9transformIifLb0ELb1ELb1ELj16ELj16ELj1EEEvPT_PKS1_S4_T0_PKS5_S5_S7_jjjjjjbb@rel32@hi+12
	s_getpc_b64 s[6:7]
	s_add_u32 s6, s6, __assert_fail@rel32@lo+4
	s_addc_u32 s7, s7, __assert_fail@rel32@hi+12
	v_mov_b32_e32 v0, s4
	v_mov_b32_e32 v1, s5
	s_swappc_b64 s[30:31], s[6:7]
	s_mov_b64 s[4:5], 0
	; divergent unreachable
.LBB90_2:
	s_andn2_b64 vcc, exec, s[4:5]
	s_cbranch_vccnz .LBB90_13
; %bb.3:
	s_load_dwordx8 s[4:11], s[26:27], 0x38
	s_waitcnt lgkmcnt(0)
	s_lshr_b32 s11, s4, 4
	s_and_b32 s12, s4, 15
	s_cmp_lg_u32 s12, 0
	s_cselect_b64 s[12:13], -1, 0
	s_cmp_lg_u64 s[12:13], 0
	s_addc_u32 s11, s11, 0
	v_cvt_f32_u32_e32 v0, s11
	s_load_dword s15, s[26:27], 0x18
	s_load_dwordx2 s[12:13], s[26:27], 0x20
	s_sub_i32 s14, 0, s11
	v_rcp_iflag_f32_e32 v0, v0
	v_mul_f32_e32 v0, 0x4f7ffffe, v0
	v_cvt_u32_f32_e32 v0, v0
	v_readfirstlane_b32 s16, v0
	s_mul_i32 s14, s14, s16
	s_mul_hi_u32 s14, s16, s14
	s_add_i32 s16, s16, s14
	s_mul_hi_u32 s14, s29, s16
	s_waitcnt lgkmcnt(0)
	s_cmp_eq_u64 s[12:13], 0
	v_mov_b32_e32 v0, s15
	s_cbranch_scc1 .LBB90_5
; %bb.4:
	v_mov_b32_e32 v0, 0
	global_load_dword v0, v0, s[12:13]
.LBB90_5:
	s_load_dwordx2 s[12:13], s[26:27], 0x30
	s_load_dword s15, s[26:27], 0x28
	s_waitcnt lgkmcnt(0)
	s_cmp_eq_u64 s[12:13], 0
	v_mov_b32_e32 v1, s15
	s_cbranch_scc1 .LBB90_7
; %bb.6:
	v_mov_b32_e32 v1, 0
	global_load_dword v1, v1, s[12:13]
.LBB90_7:
	s_mul_i32 s12, s14, s11
	s_sub_i32 s12, s29, s12
	s_add_i32 s13, s14, 1
	s_sub_i32 s15, s12, s11
	s_cmp_ge_u32 s12, s11
	s_cselect_b32 s13, s13, s14
	s_cselect_b32 s12, s15, s12
	s_add_i32 s14, s13, 1
	s_cmp_ge_u32 s12, s11
	s_cselect_b32 s12, s14, s13
	s_mul_i32 s11, s12, s11
	s_sub_i32 s11, s29, s11
	v_and_b32_e32 v2, 15, v41
	v_lshrrev_b32_e32 v4, 4, v41
	v_lshl_or_b32 v3, s11, 4, v2
	v_lshl_add_u32 v2, s12, 4, v4
	v_cmp_gt_u32_e32 vcc, s4, v3
	v_cmp_gt_u32_e64 s[4:5], s5, v2
	s_and_b64 s[4:5], vcc, s[4:5]
	s_and_saveexec_b64 s[12:13], s[4:5]
	s_cbranch_execz .LBB90_13
; %bb.8:
	s_load_dwordx4 s[12:15], s[26:27], 0x0
	s_load_dwordx2 s[4:5], s[26:27], 0x10
	s_mul_i32 s9, s9, s28
	v_mov_b32_e32 v5, 0
	v_mov_b32_e32 v4, 0
	s_waitcnt lgkmcnt(0)
	s_cmp_eq_u64 s[14:15], 0
	s_cbranch_scc1 .LBB90_10
; %bb.9:
	s_bitcmp1_b32 s10, 0
	s_cselect_b64 vcc, -1, 0
	v_cndmask_b32_e32 v4, v2, v3, vcc
	v_mul_lo_u32 v4, v4, s6
	v_cndmask_b32_e32 v6, v3, v2, vcc
	v_mov_b32_e32 v7, 0
	v_add3_u32 v6, v6, s9, v4
	v_lshlrev_b64 v[6:7], 2, v[6:7]
	v_mov_b32_e32 v4, s15
	v_add_co_u32_e32 v6, vcc, s14, v6
	v_addc_co_u32_e32 v7, vcc, v4, v7, vcc
	global_load_dword v4, v[6:7], off
	s_waitcnt vmcnt(0)
	v_cvt_f32_i32_e32 v4, v4
.LBB90_10:
	s_cmp_eq_u64 s[4:5], 0
	s_cbranch_scc1 .LBB90_12
; %bb.11:
	s_load_dword s6, s[26:27], 0x50
	v_mov_b32_e32 v6, 0
	v_mov_b32_e32 v7, s5
	s_waitcnt lgkmcnt(0)
	s_bitcmp1_b32 s6, 8
	s_cselect_b64 vcc, -1, 0
	v_cndmask_b32_e32 v5, v3, v2, vcc
	v_mul_lo_u32 v5, v5, s7
	v_cndmask_b32_e32 v8, v2, v3, vcc
	v_add3_u32 v5, v8, s9, v5
	v_lshlrev_b64 v[5:6], 2, v[5:6]
	v_add_co_u32_e32 v5, vcc, s4, v5
	v_addc_co_u32_e32 v6, vcc, v7, v6, vcc
	global_load_dword v5, v[5:6], off
	s_waitcnt vmcnt(0)
	v_cvt_f32_i32_e32 v5, v5
.LBB90_12:
	v_mul_lo_u32 v3, v3, s8
	s_waitcnt vmcnt(0)
	v_mul_f32_e32 v1, v1, v5
	v_fmac_f32_e32 v1, v0, v4
	v_cvt_i32_f32_e32 v4, v1
	v_add3_u32 v0, v2, s9, v3
	v_mov_b32_e32 v1, 0
	v_lshlrev_b64 v[0:1], 2, v[0:1]
	v_mov_b32_e32 v2, s13
	v_add_co_u32_e32 v0, vcc, s12, v0
	v_addc_co_u32_e32 v1, vcc, v2, v1, vcc
	global_store_dword v[0:1], v4, off
.LBB90_13:
	s_endpgm
	.section	.rodata,"a",@progbits
	.p2align	6, 0x0
	.amdhsa_kernel Transform_I32_S_011_16_16_VW_1
		.amdhsa_group_segment_fixed_size 0
		.amdhsa_private_segment_fixed_size 64
		.amdhsa_kernarg_size 344
		.amdhsa_user_sgpr_count 8
		.amdhsa_user_sgpr_private_segment_buffer 1
		.amdhsa_user_sgpr_dispatch_ptr 0
		.amdhsa_user_sgpr_queue_ptr 0
		.amdhsa_user_sgpr_kernarg_segment_ptr 1
		.amdhsa_user_sgpr_dispatch_id 0
		.amdhsa_user_sgpr_flat_scratch_init 1
		.amdhsa_user_sgpr_private_segment_size 0
		.amdhsa_uses_dynamic_stack 0
		.amdhsa_system_sgpr_private_segment_wavefront_offset 1
		.amdhsa_system_sgpr_workgroup_id_x 1
		.amdhsa_system_sgpr_workgroup_id_y 0
		.amdhsa_system_sgpr_workgroup_id_z 1
		.amdhsa_system_sgpr_workgroup_info 0
		.amdhsa_system_vgpr_workitem_id 0
		.amdhsa_next_free_vgpr 42
		.amdhsa_next_free_sgpr 34
		.amdhsa_reserve_vcc 1
		.amdhsa_reserve_flat_scratch 1
		.amdhsa_float_round_mode_32 0
		.amdhsa_float_round_mode_16_64 0
		.amdhsa_float_denorm_mode_32 3
		.amdhsa_float_denorm_mode_16_64 3
		.amdhsa_dx10_clamp 1
		.amdhsa_ieee_mode 1
		.amdhsa_fp16_overflow 0
		.amdhsa_exception_fp_ieee_invalid_op 0
		.amdhsa_exception_fp_denorm_src 0
		.amdhsa_exception_fp_ieee_div_zero 0
		.amdhsa_exception_fp_ieee_overflow 0
		.amdhsa_exception_fp_ieee_underflow 0
		.amdhsa_exception_fp_ieee_inexact 0
		.amdhsa_exception_int_div_zero 0
	.end_amdhsa_kernel
	.text
.Lfunc_end90:
	.size	Transform_I32_S_011_16_16_VW_1, .Lfunc_end90-Transform_I32_S_011_16_16_VW_1
                                        ; -- End function
	.set Transform_I32_S_011_16_16_VW_1.num_vgpr, max(42, .L__assert_fail.num_vgpr)
	.set Transform_I32_S_011_16_16_VW_1.num_agpr, max(0, .L__assert_fail.num_agpr)
	.set Transform_I32_S_011_16_16_VW_1.numbered_sgpr, max(33, .L__assert_fail.numbered_sgpr)
	.set Transform_I32_S_011_16_16_VW_1.num_named_barrier, max(0, .L__assert_fail.num_named_barrier)
	.set Transform_I32_S_011_16_16_VW_1.private_seg_size, 0+max(.L__assert_fail.private_seg_size)
	.set Transform_I32_S_011_16_16_VW_1.uses_vcc, or(1, .L__assert_fail.uses_vcc)
	.set Transform_I32_S_011_16_16_VW_1.uses_flat_scratch, or(1, .L__assert_fail.uses_flat_scratch)
	.set Transform_I32_S_011_16_16_VW_1.has_dyn_sized_stack, or(0, .L__assert_fail.has_dyn_sized_stack)
	.set Transform_I32_S_011_16_16_VW_1.has_recursion, or(0, .L__assert_fail.has_recursion)
	.set Transform_I32_S_011_16_16_VW_1.has_indirect_call, or(0, .L__assert_fail.has_indirect_call)
	.section	.AMDGPU.csdata,"",@progbits
; Kernel info:
; codeLenInByte = 680
; TotalNumSgprs: 40
; NumVgprs: 42
; ScratchSize: 64
; MemoryBound: 0
; FloatMode: 240
; IeeeMode: 1
; LDSByteSize: 0 bytes/workgroup (compile time only)
; SGPRBlocks: 4
; VGPRBlocks: 10
; NumSGPRsForWavesPerEU: 40
; NumVGPRsForWavesPerEU: 42
; Occupancy: 5
; WaveLimiterHint : 1
; COMPUTE_PGM_RSRC2:SCRATCH_EN: 1
; COMPUTE_PGM_RSRC2:USER_SGPR: 8
; COMPUTE_PGM_RSRC2:TRAP_HANDLER: 0
; COMPUTE_PGM_RSRC2:TGID_X_EN: 1
; COMPUTE_PGM_RSRC2:TGID_Y_EN: 0
; COMPUTE_PGM_RSRC2:TGID_Z_EN: 1
; COMPUTE_PGM_RSRC2:TIDIG_COMP_CNT: 0
	.text
	.protected	Transform_I32_S_011_16_16_VW_4 ; -- Begin function Transform_I32_S_011_16_16_VW_4
	.globl	Transform_I32_S_011_16_16_VW_4
	.p2align	8
	.type	Transform_I32_S_011_16_16_VW_4,@function
Transform_I32_S_011_16_16_VW_4:         ; @Transform_I32_S_011_16_16_VW_4
; %bb.0:
	s_mov_b64 s[26:27], s[4:5]
	s_load_dword s4, s[6:7], 0x64
	s_add_u32 flat_scratch_lo, s8, s12
	s_addc_u32 flat_scratch_hi, s9, 0
	s_add_u32 s0, s0, s12
	s_addc_u32 s1, s1, 0
	s_waitcnt lgkmcnt(0)
	s_and_b32 s4, s4, 0xffff
	s_mov_b32 s35, s11
	s_mov_b32 s34, s10
	s_mov_b64 s[28:29], s[6:7]
	v_mov_b32_e32 v41, v2
	v_mov_b32_e32 v43, v1
	;; [unrolled: 1-line block ×3, first 2 shown]
	s_cmpk_eq_i32 s4, 0x100
	s_mov_b64 s[4:5], -1
	s_mov_b32 s32, 0
	s_cbranch_scc1 .LBB91_2
; %bb.1:
	s_add_u32 s8, s28, 0x58
	s_addc_u32 s9, s29, 0
	s_getpc_b64 s[4:5]
	s_add_u32 s4, s4, __PRETTY_FUNCTION__._ZN10amd_detail9transformIifLb0ELb1ELb1ELj16ELj16ELj4EEEvPT_PKS1_S4_T0_PKS5_S5_S7_jjjjjjbb@rel32@lo+4
	s_addc_u32 s5, s5, __PRETTY_FUNCTION__._ZN10amd_detail9transformIifLb0ELb1ELb1ELj16ELj16ELj4EEEvPT_PKS1_S4_T0_PKS5_S5_S7_jjjjjjbb@rel32@hi+12
	s_getpc_b64 s[6:7]
	s_add_u32 s6, s6, __assert_fail@rel32@lo+4
	s_addc_u32 s7, s7, __assert_fail@rel32@hi+12
	v_mov_b32_e32 v0, s4
	v_mov_b32_e32 v1, s5
	s_swappc_b64 s[30:31], s[6:7]
	s_mov_b64 s[4:5], 0
	; divergent unreachable
.LBB91_2:
	s_andn2_b64 vcc, exec, s[4:5]
	s_cbranch_vccnz .LBB91_54
; %bb.3:
	s_load_dwordx4 s[12:15], s[28:29], 0x38
	s_waitcnt lgkmcnt(0)
	s_lshr_b32 s6, s12, 4
	s_and_b32 s4, s12, 15
	s_cmp_lg_u32 s4, 0
	s_cselect_b64 s[4:5], -1, 0
	s_cmp_lg_u64 s[4:5], 0
	s_addc_u32 s6, s6, 0
	v_cvt_f32_u32_e32 v0, s6
	s_load_dword s8, s[28:29], 0x18
	s_load_dwordx2 s[4:5], s[28:29], 0x20
	s_sub_i32 s7, 0, s6
	v_rcp_iflag_f32_e32 v0, v0
	s_waitcnt lgkmcnt(0)
	v_mov_b32_e32 v3, s8
	v_mul_f32_e32 v0, 0x4f7ffffe, v0
	v_cvt_u32_f32_e32 v0, v0
	v_readfirstlane_b32 s9, v0
	s_mul_i32 s7, s7, s9
	s_mul_hi_u32 s7, s9, s7
	s_add_i32 s9, s9, s7
	s_mul_hi_u32 s7, s34, s9
	s_cmp_eq_u64 s[4:5], 0
	s_cbranch_scc1 .LBB91_5
; %bb.4:
	v_mov_b32_e32 v0, 0
	global_load_dword v3, v0, s[4:5]
.LBB91_5:
	s_load_dwordx2 s[4:5], s[28:29], 0x30
	s_load_dword s8, s[28:29], 0x28
	s_waitcnt lgkmcnt(0)
	s_cmp_eq_u64 s[4:5], 0
	v_mov_b32_e32 v13, s8
	s_cbranch_scc1 .LBB91_7
; %bb.6:
	v_mov_b32_e32 v0, 0
	global_load_dword v13, v0, s[4:5]
.LBB91_7:
	s_mul_i32 s4, s7, s6
	s_sub_i32 s4, s34, s4
	s_add_i32 s5, s7, 1
	s_sub_i32 s8, s4, s6
	s_cmp_ge_u32 s4, s6
	s_cselect_b32 s5, s5, s7
	s_cselect_b32 s4, s8, s4
	s_add_i32 s7, s5, 1
	s_cmp_ge_u32 s4, s6
	s_cselect_b32 s30, s7, s5
	s_mul_i32 s31, s30, s6
	s_sub_i32 s4, s34, s31
	v_and_b32_e32 v8, 15, v42
	v_lshl_or_b32 v4, s4, 4, v8
	v_cmp_gt_u32_e32 vcc, s12, v4
	s_and_saveexec_b64 s[4:5], vcc
	s_cbranch_execz .LBB91_54
; %bb.8:
	v_lshrrev_b32_e32 v0, 2, v42
	s_lshl_b32 s12, s30, 6
	v_and_b32_e32 v10, 0xfc, v0
	s_load_dwordx4 s[20:23], s[28:29], 0x48
	v_add_u32_e32 v9, s12, v10
	v_add_u32_e32 v12, 4, v9
	v_sub_u32_e64 v11, v12, s13 clamp
	s_load_dwordx4 s[16:19], s[28:29], 0x0
	s_load_dwordx2 s[24:25], s[28:29], 0x10
	v_sub_u32_e32 v2, v9, v11
	s_waitcnt vmcnt(0)
	v_mad_u64_u32 v[0:1], s[4:5], v4, s14, v[2:3]
	s_waitcnt lgkmcnt(0)
	s_bitcmp1_b32 s22, 0
	s_cselect_b64 vcc, -1, 0
	s_cmp_lg_u64 s[18:19], 0
	s_mul_i32 s21, s21, s35
	s_cselect_b64 s[10:11], -1, 0
	s_cmp_eq_u64 s[18:19], 0
	v_mov_b32_e32 v15, 0
	v_mov_b32_e32 v14, 0
	s_cbranch_scc1 .LBB91_10
; %bb.9:
	v_mad_u64_u32 v[5:6], s[4:5], v2, s14, v[4:5]
	v_mov_b32_e32 v6, 0
	v_mov_b32_e32 v1, s19
	v_cndmask_b32_e32 v5, v5, v0, vcc
	v_add_u32_e32 v5, s21, v5
	v_lshlrev_b64 v[5:6], 2, v[5:6]
	v_add_co_u32_e64 v5, s[4:5], s18, v5
	v_addc_co_u32_e64 v6, s[4:5], v1, v6, s[4:5]
	global_load_dword v1, v[5:6], off
	s_waitcnt vmcnt(0)
	v_cvt_f32_i32_e32 v14, v1
.LBB91_10:
	s_load_dword s6, s[28:29], 0x50
	s_xor_b64 s[8:9], vcc, -1
	v_mad_u64_u32 v[5:6], s[4:5], v4, s15, v[2:3]
	v_mul_lo_u32 v16, v2, s15
	s_waitcnt lgkmcnt(0)
	s_bitcmp1_b32 s6, 8
	s_cselect_b64 s[6:7], -1, 0
	s_cmp_lg_u64 s[24:25], 0
	s_cselect_b64 s[22:23], -1, 0
	s_cmp_eq_u64 s[24:25], 0
	s_cbranch_scc1 .LBB91_12
; %bb.11:
	v_add_u32_e32 v1, v16, v4
	v_cndmask_b32_e64 v1, v5, v1, s[6:7]
	v_add_u32_e32 v6, s21, v1
	v_mov_b32_e32 v7, 0
	v_lshlrev_b64 v[6:7], 2, v[6:7]
	v_mov_b32_e32 v1, s25
	v_add_co_u32_e32 v6, vcc, s24, v6
	v_addc_co_u32_e32 v7, vcc, v1, v7, vcc
	global_load_dword v1, v[6:7], off
	s_waitcnt vmcnt(0)
	v_cvt_f32_i32_e32 v15, v1
.LBB91_12:
	v_cndmask_b32_e64 v1, 0, 1, s[8:9]
	v_cmp_ne_u32_e64 s[4:5], 1, v1
	s_andn2_b64 vcc, exec, s[8:9]
	s_cbranch_vccnz .LBB91_14
; %bb.13:
	v_mul_lo_u32 v1, s14, v2
	v_add3_u32 v1, v1, s14, v4
	s_xor_b64 s[8:9], s[6:7], -1
	s_cbranch_execz .LBB91_15
	s_branch .LBB91_16
.LBB91_14:
                                        ; implicit-def: $vgpr1
	s_xor_b64 s[8:9], s[6:7], -1
.LBB91_15:
	v_add_u32_e32 v1, 1, v0
.LBB91_16:
	v_cndmask_b32_e64 v6, 0, 1, s[8:9]
	v_cmp_ne_u32_e64 s[6:7], 1, v6
	s_andn2_b64 vcc, exec, s[8:9]
	s_cbranch_vccnz .LBB91_18
; %bb.17:
	v_add_u32_e32 v6, 1, v5
	s_cbranch_execz .LBB91_19
	s_branch .LBB91_20
.LBB91_18:
                                        ; implicit-def: $vgpr6
.LBB91_19:
	v_add3_u32 v6, v16, s15, v4
.LBB91_20:
	v_cndmask_b32_e64 v7, 0, 1, s[10:11]
	v_mov_b32_e32 v18, 0
	v_cmp_ne_u32_e64 s[8:9], 1, v7
	s_andn2_b64 vcc, exec, s[10:11]
	v_mov_b32_e32 v17, 0
	s_cbranch_vccnz .LBB91_22
; %bb.21:
	v_add_u32_e32 v19, s21, v1
	v_mov_b32_e32 v20, 0
	v_lshlrev_b64 v[19:20], 2, v[19:20]
	v_mov_b32_e32 v1, s19
	v_add_co_u32_e32 v19, vcc, s18, v19
	v_addc_co_u32_e32 v20, vcc, v1, v20, vcc
	global_load_dword v1, v[19:20], off
	s_waitcnt vmcnt(0)
	v_cvt_f32_i32_e32 v17, v1
.LBB91_22:
	v_cndmask_b32_e64 v1, 0, 1, s[22:23]
	v_cmp_ne_u32_e64 s[10:11], 1, v1
	s_andn2_b64 vcc, exec, s[22:23]
	s_cbranch_vccnz .LBB91_24
; %bb.23:
	v_add_u32_e32 v6, s21, v6
	v_mov_b32_e32 v7, 0
	v_lshlrev_b64 v[6:7], 2, v[6:7]
	v_mov_b32_e32 v1, s25
	v_add_co_u32_e32 v6, vcc, s24, v6
	v_addc_co_u32_e32 v7, vcc, v1, v7, vcc
	global_load_dword v1, v[6:7], off
	s_waitcnt vmcnt(0)
	v_cvt_f32_i32_e32 v18, v1
.LBB91_24:
	s_and_b64 vcc, exec, s[4:5]
	s_cbranch_vccnz .LBB91_26
; %bb.25:
	v_add_u32_e32 v1, 2, v2
	v_mad_u64_u32 v[6:7], s[22:23], v1, s14, v[4:5]
	s_cbranch_execz .LBB91_27
	s_branch .LBB91_28
.LBB91_26:
                                        ; implicit-def: $vgpr6
.LBB91_27:
	v_add_u32_e32 v6, 2, v0
.LBB91_28:
	s_and_b64 vcc, exec, s[6:7]
	s_cbranch_vccnz .LBB91_30
; %bb.29:
	v_add_u32_e32 v1, 2, v5
	s_cbranch_execz .LBB91_31
	s_branch .LBB91_32
.LBB91_30:
                                        ; implicit-def: $vgpr1
.LBB91_31:
	s_lshl_b32 s22, s15, 1
	v_add3_u32 v1, v16, s22, v4
.LBB91_32:
	v_mov_b32_e32 v19, 0
	s_and_b64 vcc, exec, s[8:9]
	v_mov_b32_e32 v7, 0
	s_cbranch_vccnz .LBB91_34
; %bb.33:
	v_add_u32_e32 v6, s21, v6
	v_mov_b32_e32 v7, 0
	v_lshlrev_b64 v[6:7], 2, v[6:7]
	v_mov_b32_e32 v20, s19
	v_add_co_u32_e32 v6, vcc, s18, v6
	v_addc_co_u32_e32 v7, vcc, v20, v7, vcc
	global_load_dword v6, v[6:7], off
	s_waitcnt vmcnt(0)
	v_cvt_f32_i32_e32 v7, v6
.LBB91_34:
	s_and_b64 vcc, exec, s[10:11]
	s_cbranch_vccnz .LBB91_36
; %bb.35:
	v_add_u32_e32 v19, s21, v1
	v_mov_b32_e32 v20, 0
	v_lshlrev_b64 v[19:20], 2, v[19:20]
	v_mov_b32_e32 v1, s25
	v_add_co_u32_e32 v19, vcc, s24, v19
	v_addc_co_u32_e32 v20, vcc, v1, v20, vcc
	global_load_dword v1, v[19:20], off
	s_waitcnt vmcnt(0)
	v_cvt_f32_i32_e32 v19, v1
.LBB91_36:
	s_and_b64 vcc, exec, s[4:5]
	s_cbranch_vccnz .LBB91_38
; %bb.37:
	v_add_u32_e32 v1, 3, v2
	v_mad_u64_u32 v[1:2], s[4:5], v1, s14, v[4:5]
	s_cbranch_execz .LBB91_39
	s_branch .LBB91_40
.LBB91_38:
                                        ; implicit-def: $vgpr1
.LBB91_39:
	v_add_u32_e32 v1, 3, v0
.LBB91_40:
	s_and_b64 vcc, exec, s[6:7]
	s_cbranch_vccnz .LBB91_42
; %bb.41:
	v_add_u32_e32 v0, 3, v5
	s_cbranch_execz .LBB91_43
	s_branch .LBB91_44
.LBB91_42:
                                        ; implicit-def: $vgpr0
.LBB91_43:
	s_mul_i32 s4, s15, 3
	v_add3_u32 v0, v16, s4, v4
.LBB91_44:
	v_mov_b32_e32 v16, 0
	s_and_b64 vcc, exec, s[8:9]
	v_mov_b32_e32 v6, 0
	s_cbranch_vccnz .LBB91_46
; %bb.45:
	v_add_u32_e32 v1, s21, v1
	v_mov_b32_e32 v2, 0
	v_lshlrev_b64 v[1:2], 2, v[1:2]
	v_mov_b32_e32 v5, s19
	v_add_co_u32_e32 v1, vcc, s18, v1
	v_addc_co_u32_e32 v2, vcc, v5, v2, vcc
	global_load_dword v1, v[1:2], off
	s_waitcnt vmcnt(0)
	v_cvt_f32_i32_e32 v6, v1
.LBB91_46:
	s_and_b64 vcc, exec, s[10:11]
	s_cbranch_vccnz .LBB91_48
; %bb.47:
	v_add_u32_e32 v0, s21, v0
	v_mov_b32_e32 v1, 0
	v_lshlrev_b64 v[0:1], 2, v[0:1]
	v_mov_b32_e32 v2, s25
	v_add_co_u32_e32 v0, vcc, s24, v0
	v_addc_co_u32_e32 v1, vcc, v2, v1, vcc
	global_load_dword v0, v[0:1], off
	s_waitcnt vmcnt(0)
	v_cvt_f32_i32_e32 v16, v0
.LBB91_48:
	s_load_dwordx2 s[4:5], s[26:27], 0x4
	v_mul_f32_e32 v2, v13, v19
	v_mul_f32_e32 v0, v13, v15
	v_mul_f32_e32 v1, v13, v18
	v_fmac_f32_e32 v2, v3, v7
	s_waitcnt lgkmcnt(0)
	s_lshr_b32 s4, s4, 16
	s_mul_i32 s4, s4, s5
	v_mul_lo_u32 v5, s4, v42
	v_mul_f32_e32 v7, v13, v16
	v_fmac_f32_e32 v0, v3, v14
	v_fmac_f32_e32 v1, v3, v17
	;; [unrolled: 1-line block ×3, first 2 shown]
	v_cvt_i32_f32_e32 v0, v0
	v_cvt_i32_f32_e32 v1, v1
	v_cvt_i32_f32_e32 v2, v2
	v_cvt_i32_f32_e32 v3, v7
	v_mad_u32_u24 v6, v43, s5, v5
	v_add_lshl_u32 v6, v6, v41, 4
	v_cmp_ge_u32_e32 vcc, s13, v12
	ds_write_b128 v6, v[0:3]
	s_and_saveexec_b64 s[6:7], vcc
	s_xor_b64 s[6:7], exec, s[6:7]
	s_cbranch_execz .LBB91_50
; %bb.49:
	v_mul_lo_u32 v4, v4, s20
	v_mov_b32_e32 v5, 0
	v_mov_b32_e32 v8, s17
                                        ; implicit-def: $vgpr10
                                        ; implicit-def: $vgpr12
                                        ; implicit-def: $vgpr42
                                        ; implicit-def: $vgpr43
                                        ; implicit-def: $vgpr41
	v_add3_u32 v4, v9, s21, v4
	v_sub_u32_e32 v4, v4, v11
	v_lshlrev_b64 v[6:7], 2, v[4:5]
                                        ; implicit-def: $vgpr9
                                        ; implicit-def: $vgpr11
	v_add_co_u32_e32 v6, vcc, s16, v6
	v_addc_co_u32_e32 v7, vcc, v8, v7, vcc
	global_store_dword v[6:7], v0, off
	v_add_u32_e32 v6, 1, v4
	v_mov_b32_e32 v7, v5
	v_lshlrev_b64 v[6:7], 2, v[6:7]
	v_mov_b32_e32 v0, s17
	v_add_co_u32_e32 v6, vcc, s16, v6
	v_addc_co_u32_e32 v7, vcc, v0, v7, vcc
	global_store_dword v[6:7], v1, off
	v_add_u32_e32 v0, 2, v4
	v_mov_b32_e32 v1, v5
	v_lshlrev_b64 v[0:1], 2, v[0:1]
	v_mov_b32_e32 v6, s17
	v_add_co_u32_e32 v0, vcc, s16, v0
	v_addc_co_u32_e32 v1, vcc, v6, v1, vcc
	v_add_u32_e32 v4, 3, v4
	global_store_dword v[0:1], v2, off
	v_lshlrev_b64 v[0:1], 2, v[4:5]
	v_mov_b32_e32 v2, s17
	v_add_co_u32_e32 v0, vcc, s16, v0
	v_addc_co_u32_e32 v1, vcc, v2, v1, vcc
	global_store_dword v[0:1], v3, off
                                        ; implicit-def: $vgpr8
                                        ; implicit-def: $vgpr5
.LBB91_50:
	s_andn2_saveexec_b64 s[6:7], s[6:7]
	s_cbranch_execz .LBB91_54
; %bb.51:
	v_cmp_gt_u32_e32 vcc, 4, v11
	s_and_b64 exec, exec, vcc
	s_cbranch_execz .LBB91_54
; %bb.52:
	v_lshl_or_b32 v0, s34, 4, v8
	s_lshl_b32 s4, s31, 4
	v_mul_u32_u24_e32 v1, s5, v43
	v_subrev_u32_e32 v0, s4, v0
	v_lshrrev_b32_e32 v4, 4, v42
	v_mul_lo_u32 v0, s20, v0
	v_add3_u32 v1, v1, v41, v4
	v_min_u32_e32 v3, s13, v12
	v_add_lshl_u32 v1, v1, v5, 4
	v_sub_u32_e32 v2, v9, v3
	v_lshl_add_u32 v1, s30, 8, v1
	v_lshlrev_b32_e32 v3, 2, v3
	s_add_i32 s12, s12, s21
	v_sub_u32_e32 v1, v1, v3
	v_add_u32_e32 v2, 3, v2
	v_add3_u32 v0, s12, v0, v10
	v_add_u32_e32 v3, 16, v1
	s_mov_b64 s[6:7], 0
	v_mov_b32_e32 v1, 0
	v_mov_b32_e32 v4, s17
.LBB91_53:                              ; =>This Inner Loop Header: Depth=1
	ds_read_b32 v7, v3
	v_lshlrev_b64 v[5:6], 2, v[0:1]
	v_add_u32_e32 v2, 1, v2
	v_cmp_lt_u32_e32 vcc, 2, v2
	v_add_co_u32_e64 v5, s[4:5], s16, v5
	v_add_u32_e32 v0, 1, v0
	v_add_u32_e32 v3, 4, v3
	v_addc_co_u32_e64 v6, s[4:5], v4, v6, s[4:5]
	s_or_b64 s[6:7], vcc, s[6:7]
	s_waitcnt lgkmcnt(0)
	global_store_dword v[5:6], v7, off
	s_andn2_b64 exec, exec, s[6:7]
	s_cbranch_execnz .LBB91_53
.LBB91_54:
	s_endpgm
	.section	.rodata,"a",@progbits
	.p2align	6, 0x0
	.amdhsa_kernel Transform_I32_S_011_16_16_VW_4
		.amdhsa_group_segment_fixed_size 16384
		.amdhsa_private_segment_fixed_size 64
		.amdhsa_kernarg_size 344
		.amdhsa_user_sgpr_count 10
		.amdhsa_user_sgpr_private_segment_buffer 1
		.amdhsa_user_sgpr_dispatch_ptr 1
		.amdhsa_user_sgpr_queue_ptr 0
		.amdhsa_user_sgpr_kernarg_segment_ptr 1
		.amdhsa_user_sgpr_dispatch_id 0
		.amdhsa_user_sgpr_flat_scratch_init 1
		.amdhsa_user_sgpr_private_segment_size 0
		.amdhsa_uses_dynamic_stack 0
		.amdhsa_system_sgpr_private_segment_wavefront_offset 1
		.amdhsa_system_sgpr_workgroup_id_x 1
		.amdhsa_system_sgpr_workgroup_id_y 0
		.amdhsa_system_sgpr_workgroup_id_z 1
		.amdhsa_system_sgpr_workgroup_info 0
		.amdhsa_system_vgpr_workitem_id 2
		.amdhsa_next_free_vgpr 44
		.amdhsa_next_free_sgpr 36
		.amdhsa_reserve_vcc 1
		.amdhsa_reserve_flat_scratch 1
		.amdhsa_float_round_mode_32 0
		.amdhsa_float_round_mode_16_64 0
		.amdhsa_float_denorm_mode_32 3
		.amdhsa_float_denorm_mode_16_64 3
		.amdhsa_dx10_clamp 1
		.amdhsa_ieee_mode 1
		.amdhsa_fp16_overflow 0
		.amdhsa_exception_fp_ieee_invalid_op 0
		.amdhsa_exception_fp_denorm_src 0
		.amdhsa_exception_fp_ieee_div_zero 0
		.amdhsa_exception_fp_ieee_overflow 0
		.amdhsa_exception_fp_ieee_underflow 0
		.amdhsa_exception_fp_ieee_inexact 0
		.amdhsa_exception_int_div_zero 0
	.end_amdhsa_kernel
	.text
.Lfunc_end91:
	.size	Transform_I32_S_011_16_16_VW_4, .Lfunc_end91-Transform_I32_S_011_16_16_VW_4
                                        ; -- End function
	.set Transform_I32_S_011_16_16_VW_4.num_vgpr, max(44, .L__assert_fail.num_vgpr)
	.set Transform_I32_S_011_16_16_VW_4.num_agpr, max(0, .L__assert_fail.num_agpr)
	.set Transform_I32_S_011_16_16_VW_4.numbered_sgpr, max(36, .L__assert_fail.numbered_sgpr)
	.set Transform_I32_S_011_16_16_VW_4.num_named_barrier, max(0, .L__assert_fail.num_named_barrier)
	.set Transform_I32_S_011_16_16_VW_4.private_seg_size, 0+max(.L__assert_fail.private_seg_size)
	.set Transform_I32_S_011_16_16_VW_4.uses_vcc, or(1, .L__assert_fail.uses_vcc)
	.set Transform_I32_S_011_16_16_VW_4.uses_flat_scratch, or(1, .L__assert_fail.uses_flat_scratch)
	.set Transform_I32_S_011_16_16_VW_4.has_dyn_sized_stack, or(0, .L__assert_fail.has_dyn_sized_stack)
	.set Transform_I32_S_011_16_16_VW_4.has_recursion, or(0, .L__assert_fail.has_recursion)
	.set Transform_I32_S_011_16_16_VW_4.has_indirect_call, or(0, .L__assert_fail.has_indirect_call)
	.section	.AMDGPU.csdata,"",@progbits
; Kernel info:
; codeLenInByte = 1756
; TotalNumSgprs: 42
; NumVgprs: 44
; ScratchSize: 64
; MemoryBound: 0
; FloatMode: 240
; IeeeMode: 1
; LDSByteSize: 16384 bytes/workgroup (compile time only)
; SGPRBlocks: 5
; VGPRBlocks: 10
; NumSGPRsForWavesPerEU: 42
; NumVGPRsForWavesPerEU: 44
; Occupancy: 5
; WaveLimiterHint : 1
; COMPUTE_PGM_RSRC2:SCRATCH_EN: 1
; COMPUTE_PGM_RSRC2:USER_SGPR: 10
; COMPUTE_PGM_RSRC2:TRAP_HANDLER: 0
; COMPUTE_PGM_RSRC2:TGID_X_EN: 1
; COMPUTE_PGM_RSRC2:TGID_Y_EN: 0
; COMPUTE_PGM_RSRC2:TGID_Z_EN: 1
; COMPUTE_PGM_RSRC2:TIDIG_COMP_CNT: 2
	.text
	.protected	Transform_I32_S_010_16_16_VW_1 ; -- Begin function Transform_I32_S_010_16_16_VW_1
	.globl	Transform_I32_S_010_16_16_VW_1
	.p2align	8
	.type	Transform_I32_S_010_16_16_VW_1,@function
Transform_I32_S_010_16_16_VW_1:         ; @Transform_I32_S_010_16_16_VW_1
; %bb.0:
	s_mov_b64 s[26:27], s[4:5]
	s_load_dword s4, s[4:5], 0x64
	s_add_u32 flat_scratch_lo, s6, s10
	s_addc_u32 flat_scratch_hi, s7, 0
	s_add_u32 s0, s0, s10
	s_addc_u32 s1, s1, 0
	s_waitcnt lgkmcnt(0)
	s_and_b32 s4, s4, 0xffff
	s_mov_b32 s28, s9
	s_mov_b32 s29, s8
	v_mov_b32_e32 v41, v0
	s_cmpk_eq_i32 s4, 0x100
	s_mov_b64 s[4:5], -1
	s_mov_b32 s32, 0
	s_cbranch_scc1 .LBB92_2
; %bb.1:
	s_add_u32 s8, s26, 0x58
	s_addc_u32 s9, s27, 0
	s_getpc_b64 s[4:5]
	s_add_u32 s4, s4, __PRETTY_FUNCTION__._ZN10amd_detail9transformIifLb0ELb1ELb0ELj16ELj16ELj1EEEvPT_PKS1_S4_T0_PKS5_S5_S7_jjjjjjbb@rel32@lo+4
	s_addc_u32 s5, s5, __PRETTY_FUNCTION__._ZN10amd_detail9transformIifLb0ELb1ELb0ELj16ELj16ELj1EEEvPT_PKS1_S4_T0_PKS5_S5_S7_jjjjjjbb@rel32@hi+12
	s_getpc_b64 s[6:7]
	s_add_u32 s6, s6, __assert_fail@rel32@lo+4
	s_addc_u32 s7, s7, __assert_fail@rel32@hi+12
	v_mov_b32_e32 v0, s4
	v_mov_b32_e32 v1, s5
	s_swappc_b64 s[30:31], s[6:7]
	s_mov_b64 s[4:5], 0
	; divergent unreachable
.LBB92_2:
	s_andn2_b64 vcc, exec, s[4:5]
	s_cbranch_vccnz .LBB92_13
; %bb.3:
	s_load_dwordx8 s[4:11], s[26:27], 0x38
	s_waitcnt lgkmcnt(0)
	s_lshr_b32 s11, s4, 4
	s_and_b32 s12, s4, 15
	s_cmp_lg_u32 s12, 0
	s_cselect_b64 s[12:13], -1, 0
	s_cmp_lg_u64 s[12:13], 0
	s_addc_u32 s11, s11, 0
	v_cvt_f32_u32_e32 v0, s11
	s_load_dword s15, s[26:27], 0x18
	s_load_dwordx2 s[12:13], s[26:27], 0x20
	s_sub_i32 s14, 0, s11
	v_rcp_iflag_f32_e32 v0, v0
	v_mul_f32_e32 v0, 0x4f7ffffe, v0
	v_cvt_u32_f32_e32 v0, v0
	v_readfirstlane_b32 s16, v0
	s_mul_i32 s14, s14, s16
	s_mul_hi_u32 s14, s16, s14
	s_add_i32 s16, s16, s14
	s_mul_hi_u32 s14, s29, s16
	s_waitcnt lgkmcnt(0)
	s_cmp_eq_u64 s[12:13], 0
	v_mov_b32_e32 v0, s15
	s_cbranch_scc1 .LBB92_5
; %bb.4:
	v_mov_b32_e32 v0, 0
	global_load_dword v0, v0, s[12:13]
.LBB92_5:
	s_load_dwordx2 s[12:13], s[26:27], 0x30
	s_load_dword s15, s[26:27], 0x28
	s_waitcnt lgkmcnt(0)
	s_cmp_eq_u64 s[12:13], 0
	v_mov_b32_e32 v1, s15
	s_cbranch_scc1 .LBB92_7
; %bb.6:
	v_mov_b32_e32 v1, 0
	global_load_dword v1, v1, s[12:13]
.LBB92_7:
	s_mul_i32 s12, s14, s11
	s_sub_i32 s12, s29, s12
	s_add_i32 s13, s14, 1
	s_sub_i32 s15, s12, s11
	s_cmp_ge_u32 s12, s11
	s_cselect_b32 s13, s13, s14
	s_cselect_b32 s12, s15, s12
	s_add_i32 s14, s13, 1
	s_cmp_ge_u32 s12, s11
	s_cselect_b32 s12, s14, s13
	s_mul_i32 s11, s12, s11
	s_sub_i32 s11, s29, s11
	v_and_b32_e32 v2, 15, v41
	v_lshrrev_b32_e32 v3, 4, v41
	v_lshl_or_b32 v2, s11, 4, v2
	v_lshl_add_u32 v3, s12, 4, v3
	v_cmp_gt_u32_e32 vcc, s4, v2
	v_cmp_gt_u32_e64 s[4:5], s5, v3
	s_and_b64 s[4:5], vcc, s[4:5]
	s_and_saveexec_b64 s[12:13], s[4:5]
	s_cbranch_execz .LBB92_13
; %bb.8:
	s_load_dwordx4 s[12:15], s[26:27], 0x0
	s_load_dwordx2 s[4:5], s[26:27], 0x10
	s_mul_i32 s9, s9, s28
	v_mov_b32_e32 v5, 0
	v_mov_b32_e32 v4, 0
	s_waitcnt lgkmcnt(0)
	s_cmp_eq_u64 s[14:15], 0
	s_cbranch_scc1 .LBB92_10
; %bb.9:
	s_bitcmp1_b32 s10, 0
	s_cselect_b64 vcc, -1, 0
	v_cndmask_b32_e32 v4, v3, v2, vcc
	v_mul_lo_u32 v4, v4, s6
	v_cndmask_b32_e32 v6, v2, v3, vcc
	v_mov_b32_e32 v7, 0
	v_add3_u32 v6, v6, s9, v4
	v_lshlrev_b64 v[6:7], 2, v[6:7]
	v_mov_b32_e32 v4, s15
	v_add_co_u32_e32 v6, vcc, s14, v6
	v_addc_co_u32_e32 v7, vcc, v4, v7, vcc
	global_load_dword v4, v[6:7], off
	s_waitcnt vmcnt(0)
	v_cvt_f32_i32_e32 v4, v4
.LBB92_10:
	s_cmp_eq_u64 s[4:5], 0
	s_cbranch_scc1 .LBB92_12
; %bb.11:
	s_load_dword s6, s[26:27], 0x50
	v_mov_b32_e32 v6, 0
	v_mov_b32_e32 v7, s5
	s_waitcnt lgkmcnt(0)
	s_bitcmp1_b32 s6, 8
	s_cselect_b64 vcc, -1, 0
	v_cndmask_b32_e32 v5, v2, v3, vcc
	v_mul_lo_u32 v5, v5, s7
	v_cndmask_b32_e32 v8, v3, v2, vcc
	v_add3_u32 v5, v8, s9, v5
	v_lshlrev_b64 v[5:6], 2, v[5:6]
	v_add_co_u32_e32 v5, vcc, s4, v5
	v_addc_co_u32_e32 v6, vcc, v7, v6, vcc
	global_load_dword v5, v[5:6], off
	s_waitcnt vmcnt(0)
	v_cvt_f32_i32_e32 v5, v5
.LBB92_12:
	v_mul_lo_u32 v3, v3, s8
	s_waitcnt vmcnt(0)
	v_mul_f32_e32 v1, v1, v5
	v_fmac_f32_e32 v1, v0, v4
	v_cvt_i32_f32_e32 v4, v1
	v_add3_u32 v0, v2, s9, v3
	v_mov_b32_e32 v1, 0
	v_lshlrev_b64 v[0:1], 2, v[0:1]
	v_mov_b32_e32 v2, s13
	v_add_co_u32_e32 v0, vcc, s12, v0
	v_addc_co_u32_e32 v1, vcc, v2, v1, vcc
	global_store_dword v[0:1], v4, off
.LBB92_13:
	s_endpgm
	.section	.rodata,"a",@progbits
	.p2align	6, 0x0
	.amdhsa_kernel Transform_I32_S_010_16_16_VW_1
		.amdhsa_group_segment_fixed_size 0
		.amdhsa_private_segment_fixed_size 64
		.amdhsa_kernarg_size 344
		.amdhsa_user_sgpr_count 8
		.amdhsa_user_sgpr_private_segment_buffer 1
		.amdhsa_user_sgpr_dispatch_ptr 0
		.amdhsa_user_sgpr_queue_ptr 0
		.amdhsa_user_sgpr_kernarg_segment_ptr 1
		.amdhsa_user_sgpr_dispatch_id 0
		.amdhsa_user_sgpr_flat_scratch_init 1
		.amdhsa_user_sgpr_private_segment_size 0
		.amdhsa_uses_dynamic_stack 0
		.amdhsa_system_sgpr_private_segment_wavefront_offset 1
		.amdhsa_system_sgpr_workgroup_id_x 1
		.amdhsa_system_sgpr_workgroup_id_y 0
		.amdhsa_system_sgpr_workgroup_id_z 1
		.amdhsa_system_sgpr_workgroup_info 0
		.amdhsa_system_vgpr_workitem_id 0
		.amdhsa_next_free_vgpr 42
		.amdhsa_next_free_sgpr 34
		.amdhsa_reserve_vcc 1
		.amdhsa_reserve_flat_scratch 1
		.amdhsa_float_round_mode_32 0
		.amdhsa_float_round_mode_16_64 0
		.amdhsa_float_denorm_mode_32 3
		.amdhsa_float_denorm_mode_16_64 3
		.amdhsa_dx10_clamp 1
		.amdhsa_ieee_mode 1
		.amdhsa_fp16_overflow 0
		.amdhsa_exception_fp_ieee_invalid_op 0
		.amdhsa_exception_fp_denorm_src 0
		.amdhsa_exception_fp_ieee_div_zero 0
		.amdhsa_exception_fp_ieee_overflow 0
		.amdhsa_exception_fp_ieee_underflow 0
		.amdhsa_exception_fp_ieee_inexact 0
		.amdhsa_exception_int_div_zero 0
	.end_amdhsa_kernel
	.text
.Lfunc_end92:
	.size	Transform_I32_S_010_16_16_VW_1, .Lfunc_end92-Transform_I32_S_010_16_16_VW_1
                                        ; -- End function
	.set Transform_I32_S_010_16_16_VW_1.num_vgpr, max(42, .L__assert_fail.num_vgpr)
	.set Transform_I32_S_010_16_16_VW_1.num_agpr, max(0, .L__assert_fail.num_agpr)
	.set Transform_I32_S_010_16_16_VW_1.numbered_sgpr, max(33, .L__assert_fail.numbered_sgpr)
	.set Transform_I32_S_010_16_16_VW_1.num_named_barrier, max(0, .L__assert_fail.num_named_barrier)
	.set Transform_I32_S_010_16_16_VW_1.private_seg_size, 0+max(.L__assert_fail.private_seg_size)
	.set Transform_I32_S_010_16_16_VW_1.uses_vcc, or(1, .L__assert_fail.uses_vcc)
	.set Transform_I32_S_010_16_16_VW_1.uses_flat_scratch, or(1, .L__assert_fail.uses_flat_scratch)
	.set Transform_I32_S_010_16_16_VW_1.has_dyn_sized_stack, or(0, .L__assert_fail.has_dyn_sized_stack)
	.set Transform_I32_S_010_16_16_VW_1.has_recursion, or(0, .L__assert_fail.has_recursion)
	.set Transform_I32_S_010_16_16_VW_1.has_indirect_call, or(0, .L__assert_fail.has_indirect_call)
	.section	.AMDGPU.csdata,"",@progbits
; Kernel info:
; codeLenInByte = 680
; TotalNumSgprs: 40
; NumVgprs: 42
; ScratchSize: 64
; MemoryBound: 0
; FloatMode: 240
; IeeeMode: 1
; LDSByteSize: 0 bytes/workgroup (compile time only)
; SGPRBlocks: 4
; VGPRBlocks: 10
; NumSGPRsForWavesPerEU: 40
; NumVGPRsForWavesPerEU: 42
; Occupancy: 5
; WaveLimiterHint : 1
; COMPUTE_PGM_RSRC2:SCRATCH_EN: 1
; COMPUTE_PGM_RSRC2:USER_SGPR: 8
; COMPUTE_PGM_RSRC2:TRAP_HANDLER: 0
; COMPUTE_PGM_RSRC2:TGID_X_EN: 1
; COMPUTE_PGM_RSRC2:TGID_Y_EN: 0
; COMPUTE_PGM_RSRC2:TGID_Z_EN: 1
; COMPUTE_PGM_RSRC2:TIDIG_COMP_CNT: 0
	.text
	.protected	Transform_I32_S_010_16_16_VW_4 ; -- Begin function Transform_I32_S_010_16_16_VW_4
	.globl	Transform_I32_S_010_16_16_VW_4
	.p2align	8
	.type	Transform_I32_S_010_16_16_VW_4,@function
Transform_I32_S_010_16_16_VW_4:         ; @Transform_I32_S_010_16_16_VW_4
; %bb.0:
	s_mov_b64 s[26:27], s[4:5]
	s_load_dword s4, s[6:7], 0x64
	s_add_u32 flat_scratch_lo, s8, s12
	s_addc_u32 flat_scratch_hi, s9, 0
	s_add_u32 s0, s0, s12
	s_addc_u32 s1, s1, 0
	s_waitcnt lgkmcnt(0)
	s_and_b32 s4, s4, 0xffff
	s_mov_b32 s35, s11
	s_mov_b32 s34, s10
	s_mov_b64 s[28:29], s[6:7]
	v_mov_b32_e32 v41, v2
	v_mov_b32_e32 v43, v1
	;; [unrolled: 1-line block ×3, first 2 shown]
	s_cmpk_eq_i32 s4, 0x100
	s_mov_b64 s[4:5], -1
	s_mov_b32 s32, 0
	s_cbranch_scc1 .LBB93_2
; %bb.1:
	s_add_u32 s8, s28, 0x58
	s_addc_u32 s9, s29, 0
	s_getpc_b64 s[4:5]
	s_add_u32 s4, s4, __PRETTY_FUNCTION__._ZN10amd_detail9transformIifLb0ELb1ELb0ELj16ELj16ELj4EEEvPT_PKS1_S4_T0_PKS5_S5_S7_jjjjjjbb@rel32@lo+4
	s_addc_u32 s5, s5, __PRETTY_FUNCTION__._ZN10amd_detail9transformIifLb0ELb1ELb0ELj16ELj16ELj4EEEvPT_PKS1_S4_T0_PKS5_S5_S7_jjjjjjbb@rel32@hi+12
	s_getpc_b64 s[6:7]
	s_add_u32 s6, s6, __assert_fail@rel32@lo+4
	s_addc_u32 s7, s7, __assert_fail@rel32@hi+12
	v_mov_b32_e32 v0, s4
	v_mov_b32_e32 v1, s5
	s_swappc_b64 s[30:31], s[6:7]
	s_mov_b64 s[4:5], 0
	; divergent unreachable
.LBB93_2:
	s_andn2_b64 vcc, exec, s[4:5]
	s_cbranch_vccnz .LBB93_54
; %bb.3:
	s_load_dwordx8 s[12:19], s[28:29], 0x38
	s_waitcnt lgkmcnt(0)
	s_lshr_b32 s6, s12, 6
	s_and_b32 s4, s12, 63
	s_cmp_lg_u32 s4, 0
	s_cselect_b64 s[4:5], -1, 0
	s_cmp_lg_u64 s[4:5], 0
	s_addc_u32 s6, s6, 0
	v_cvt_f32_u32_e32 v0, s6
	s_load_dword s8, s[28:29], 0x18
	s_load_dwordx2 s[4:5], s[28:29], 0x20
	s_sub_i32 s7, 0, s6
	v_rcp_iflag_f32_e32 v0, v0
	s_waitcnt lgkmcnt(0)
	v_mov_b32_e32 v9, s8
	v_mul_f32_e32 v0, 0x4f7ffffe, v0
	v_cvt_u32_f32_e32 v0, v0
	v_readfirstlane_b32 s9, v0
	s_mul_i32 s7, s7, s9
	s_mul_hi_u32 s7, s9, s7
	s_add_i32 s9, s9, s7
	s_mul_hi_u32 s7, s34, s9
	s_cmp_eq_u64 s[4:5], 0
	s_cbranch_scc1 .LBB93_5
; %bb.4:
	v_mov_b32_e32 v0, 0
	global_load_dword v9, v0, s[4:5]
.LBB93_5:
	s_load_dwordx2 s[4:5], s[28:29], 0x30
	s_load_dword s8, s[28:29], 0x28
	s_waitcnt lgkmcnt(0)
	s_cmp_eq_u64 s[4:5], 0
	v_mov_b32_e32 v11, s8
	s_cbranch_scc1 .LBB93_7
; %bb.6:
	v_mov_b32_e32 v0, 0
	global_load_dword v11, v0, s[4:5]
.LBB93_7:
	s_mul_i32 s4, s7, s6
	s_sub_i32 s4, s34, s4
	s_add_i32 s5, s7, 1
	s_sub_i32 s8, s4, s6
	s_cmp_ge_u32 s4, s6
	s_cselect_b32 s5, s5, s7
	s_cselect_b32 s4, s8, s4
	s_add_i32 s7, s5, 1
	s_cmp_ge_u32 s4, s6
	s_cselect_b32 s4, s7, s5
	v_lshrrev_b32_e32 v0, 4, v42
	v_lshl_add_u32 v4, s4, 4, v0
	v_cmp_gt_u32_e32 vcc, s13, v4
	s_and_saveexec_b64 s[8:9], vcc
	s_cbranch_execz .LBB93_54
; %bb.8:
	s_mul_i32 s13, s4, s6
	v_lshlrev_b32_e32 v0, 2, v42
	s_sub_i32 s4, s34, s13
	v_and_b32_e32 v8, 60, v0
	v_lshl_or_b32 v12, s4, 6, v8
	v_add_u32_e32 v13, 4, v12
	s_load_dwordx4 s[20:23], s[28:29], 0x0
	s_load_dwordx2 s[24:25], s[28:29], 0x10
	v_sub_u32_e64 v10, v13, s12 clamp
	v_sub_u32_e32 v0, v12, v10
	v_mad_u64_u32 v[5:6], s[4:5], v4, s14, v[0:1]
	s_bitcmp1_b32 s18, 0
	s_cselect_b64 vcc, -1, 0
	s_waitcnt lgkmcnt(0)
	s_cmp_lg_u64 s[22:23], 0
	s_mul_i32 s17, s17, s35
	s_cselect_b64 s[10:11], -1, 0
	s_cmp_eq_u64 s[22:23], 0
	v_mov_b32_e32 v15, 0
	v_mov_b32_e32 v14, 0
	s_cbranch_scc1 .LBB93_10
; %bb.9:
	v_mad_u64_u32 v[1:2], s[4:5], v0, s14, v[4:5]
	v_mov_b32_e32 v2, 0
	v_mov_b32_e32 v3, s23
	v_cndmask_b32_e32 v1, v5, v1, vcc
	v_add_u32_e32 v1, s17, v1
	v_lshlrev_b64 v[1:2], 2, v[1:2]
	v_add_co_u32_e64 v1, s[4:5], s22, v1
	v_addc_co_u32_e64 v2, s[4:5], v3, v2, s[4:5]
	global_load_dword v1, v[1:2], off
	s_waitcnt vmcnt(0)
	v_cvt_f32_i32_e32 v14, v1
.LBB93_10:
	s_load_dword s6, s[28:29], 0x50
	s_xor_b64 s[8:9], vcc, -1
	v_mad_u64_u32 v[1:2], s[4:5], v4, s15, v[0:1]
	s_waitcnt lgkmcnt(0)
	s_bitcmp1_b32 s6, 8
	s_cselect_b64 s[6:7], -1, 0
	s_cmp_lg_u64 s[24:25], 0
	s_cselect_b64 s[18:19], -1, 0
	s_cmp_eq_u64 s[24:25], 0
	s_cbranch_scc1 .LBB93_12
; %bb.11:
	v_mad_u64_u32 v[2:3], s[4:5], v0, s15, v[4:5]
	v_mov_b32_e32 v3, 0
	v_mov_b32_e32 v6, s25
	v_cndmask_b32_e64 v2, v2, v1, s[6:7]
	v_add_u32_e32 v2, s17, v2
	v_lshlrev_b64 v[2:3], 2, v[2:3]
	v_add_co_u32_e32 v2, vcc, s24, v2
	v_addc_co_u32_e32 v3, vcc, v6, v3, vcc
	global_load_dword v2, v[2:3], off
	s_waitcnt vmcnt(0)
	v_cvt_f32_i32_e32 v15, v2
.LBB93_12:
	v_cndmask_b32_e64 v2, 0, 1, s[8:9]
	v_cmp_ne_u32_e64 s[4:5], 1, v2
	s_andn2_b64 vcc, exec, s[8:9]
	s_cbranch_vccnz .LBB93_14
; %bb.13:
	v_add_u32_e32 v2, 1, v5
	s_xor_b64 s[8:9], s[6:7], -1
	s_cbranch_execz .LBB93_15
	s_branch .LBB93_16
.LBB93_14:
                                        ; implicit-def: $vgpr2
	s_xor_b64 s[8:9], s[6:7], -1
.LBB93_15:
	v_mul_lo_u32 v2, s14, v0
	v_add3_u32 v2, v2, s14, v4
.LBB93_16:
	v_cndmask_b32_e64 v3, 0, 1, s[8:9]
	v_cmp_ne_u32_e64 s[6:7], 1, v3
	s_andn2_b64 vcc, exec, s[8:9]
	s_cbranch_vccnz .LBB93_18
; %bb.17:
	v_mul_lo_u32 v3, s15, v0
	v_add3_u32 v3, v3, s15, v4
	s_cbranch_execz .LBB93_19
	s_branch .LBB93_20
.LBB93_18:
                                        ; implicit-def: $vgpr3
.LBB93_19:
	v_add_u32_e32 v3, 1, v1
.LBB93_20:
	v_cndmask_b32_e64 v6, 0, 1, s[10:11]
	v_mov_b32_e32 v17, 0
	v_cmp_ne_u32_e64 s[8:9], 1, v6
	s_andn2_b64 vcc, exec, s[10:11]
	v_mov_b32_e32 v16, 0
	s_cbranch_vccnz .LBB93_22
; %bb.21:
	v_add_u32_e32 v6, s17, v2
	v_mov_b32_e32 v7, 0
	v_lshlrev_b64 v[6:7], 2, v[6:7]
	v_mov_b32_e32 v2, s23
	v_add_co_u32_e32 v6, vcc, s22, v6
	v_addc_co_u32_e32 v7, vcc, v2, v7, vcc
	global_load_dword v2, v[6:7], off
	s_waitcnt vmcnt(0)
	v_cvt_f32_i32_e32 v16, v2
.LBB93_22:
	v_cndmask_b32_e64 v2, 0, 1, s[18:19]
	v_cmp_ne_u32_e64 s[10:11], 1, v2
	s_andn2_b64 vcc, exec, s[18:19]
	s_cbranch_vccnz .LBB93_24
; %bb.23:
	v_add_u32_e32 v2, s17, v3
	v_mov_b32_e32 v3, 0
	v_lshlrev_b64 v[2:3], 2, v[2:3]
	v_mov_b32_e32 v6, s25
	v_add_co_u32_e32 v2, vcc, s24, v2
	v_addc_co_u32_e32 v3, vcc, v6, v3, vcc
	global_load_dword v2, v[2:3], off
	s_waitcnt vmcnt(0)
	v_cvt_f32_i32_e32 v17, v2
.LBB93_24:
	s_and_b64 vcc, exec, s[4:5]
	s_cbranch_vccnz .LBB93_26
; %bb.25:
	v_add_u32_e32 v2, 2, v5
	v_add_u32_e32 v6, 2, v0
	s_cbranch_execz .LBB93_27
	s_branch .LBB93_28
.LBB93_26:
                                        ; implicit-def: $vgpr2
	v_add_u32_e32 v6, 2, v0
.LBB93_27:
	v_mad_u64_u32 v[2:3], s[18:19], v6, s14, v[4:5]
.LBB93_28:
	s_and_b64 vcc, exec, s[6:7]
	s_cbranch_vccnz .LBB93_30
; %bb.29:
	v_mad_u64_u32 v[6:7], s[18:19], v6, s15, v[4:5]
	s_cbranch_execz .LBB93_31
	s_branch .LBB93_32
.LBB93_30:
                                        ; implicit-def: $vgpr6
.LBB93_31:
	v_add_u32_e32 v6, 2, v1
.LBB93_32:
	v_mov_b32_e32 v18, 0
	s_and_b64 vcc, exec, s[8:9]
	v_mov_b32_e32 v7, 0
	s_cbranch_vccnz .LBB93_34
; %bb.33:
	v_add_u32_e32 v2, s17, v2
	v_mov_b32_e32 v3, 0
	v_lshlrev_b64 v[2:3], 2, v[2:3]
	v_mov_b32_e32 v7, s23
	v_add_co_u32_e32 v2, vcc, s22, v2
	v_addc_co_u32_e32 v3, vcc, v7, v3, vcc
	global_load_dword v2, v[2:3], off
	s_waitcnt vmcnt(0)
	v_cvt_f32_i32_e32 v7, v2
.LBB93_34:
	s_and_b64 vcc, exec, s[10:11]
	s_cbranch_vccnz .LBB93_36
; %bb.35:
	v_add_u32_e32 v2, s17, v6
	v_mov_b32_e32 v3, 0
	v_lshlrev_b64 v[2:3], 2, v[2:3]
	v_mov_b32_e32 v6, s25
	v_add_co_u32_e32 v2, vcc, s24, v2
	v_addc_co_u32_e32 v3, vcc, v6, v3, vcc
	global_load_dword v2, v[2:3], off
	s_waitcnt vmcnt(0)
	v_cvt_f32_i32_e32 v18, v2
.LBB93_36:
	s_and_b64 vcc, exec, s[4:5]
	s_cbranch_vccnz .LBB93_38
; %bb.37:
	v_add_u32_e32 v2, 3, v5
	v_add_u32_e32 v0, 3, v0
	s_cbranch_execz .LBB93_39
	s_branch .LBB93_40
.LBB93_38:
                                        ; implicit-def: $vgpr2
	v_add_u32_e32 v0, 3, v0
.LBB93_39:
	v_mad_u64_u32 v[2:3], s[4:5], v0, s14, v[4:5]
.LBB93_40:
	s_and_b64 vcc, exec, s[6:7]
	s_cbranch_vccnz .LBB93_42
; %bb.41:
	v_mad_u64_u32 v[5:6], s[4:5], v0, s15, v[4:5]
	s_cbranch_execz .LBB93_43
	s_branch .LBB93_44
.LBB93_42:
                                        ; implicit-def: $vgpr5
.LBB93_43:
	v_add_u32_e32 v5, 3, v1
.LBB93_44:
	v_mov_b32_e32 v6, 0
	s_and_b64 vcc, exec, s[8:9]
	v_mov_b32_e32 v3, 0
	s_cbranch_vccnz .LBB93_46
; %bb.45:
	v_add_u32_e32 v0, s17, v2
	v_mov_b32_e32 v1, 0
	v_lshlrev_b64 v[0:1], 2, v[0:1]
	v_mov_b32_e32 v2, s23
	v_add_co_u32_e32 v0, vcc, s22, v0
	v_addc_co_u32_e32 v1, vcc, v2, v1, vcc
	global_load_dword v0, v[0:1], off
	s_waitcnt vmcnt(0)
	v_cvt_f32_i32_e32 v3, v0
.LBB93_46:
	s_and_b64 vcc, exec, s[10:11]
	s_cbranch_vccnz .LBB93_48
; %bb.47:
	v_add_u32_e32 v0, s17, v5
	v_mov_b32_e32 v1, 0
	v_lshlrev_b64 v[0:1], 2, v[0:1]
	v_mov_b32_e32 v2, s25
	v_add_co_u32_e32 v0, vcc, s24, v0
	v_addc_co_u32_e32 v1, vcc, v2, v1, vcc
	global_load_dword v0, v[0:1], off
	s_waitcnt vmcnt(0)
	v_cvt_f32_i32_e32 v6, v0
.LBB93_48:
	s_load_dwordx2 s[4:5], s[26:27], 0x4
	s_waitcnt vmcnt(0)
	v_mul_f32_e32 v0, v11, v15
	v_mul_f32_e32 v1, v11, v17
	v_mul_f32_e32 v2, v11, v18
	v_mul_f32_e32 v6, v11, v6
	s_waitcnt lgkmcnt(0)
	s_lshr_b32 s4, s4, 16
	s_mul_i32 s4, s4, s5
	v_mul_lo_u32 v5, s4, v42
	v_fmac_f32_e32 v0, v9, v14
	v_fmac_f32_e32 v1, v9, v16
	;; [unrolled: 1-line block ×4, first 2 shown]
	v_cvt_i32_f32_e32 v0, v0
	v_cvt_i32_f32_e32 v1, v1
	;; [unrolled: 1-line block ×4, first 2 shown]
	v_mul_lo_u32 v4, v4, s16
	v_mad_u32_u24 v6, v43, s5, v5
	v_add_lshl_u32 v6, v6, v41, 4
	v_cmp_ge_u32_e32 vcc, s12, v13
	ds_write_b128 v6, v[0:3]
	s_and_saveexec_b64 s[6:7], vcc
	s_xor_b64 s[6:7], exec, s[6:7]
	s_cbranch_execz .LBB93_50
; %bb.49:
	v_add_u32_e32 v5, s17, v12
	v_sub_u32_e32 v5, v5, v10
	v_add_u32_e32 v4, v5, v4
	v_mov_b32_e32 v5, 0
	v_lshlrev_b64 v[6:7], 2, v[4:5]
	v_mov_b32_e32 v8, s21
	v_add_co_u32_e32 v6, vcc, s20, v6
	v_addc_co_u32_e32 v7, vcc, v8, v7, vcc
	global_store_dword v[6:7], v0, off
	v_add_u32_e32 v6, 1, v4
	v_mov_b32_e32 v7, v5
	v_lshlrev_b64 v[6:7], 2, v[6:7]
	v_mov_b32_e32 v0, s21
	v_add_co_u32_e32 v6, vcc, s20, v6
	v_addc_co_u32_e32 v7, vcc, v0, v7, vcc
	global_store_dword v[6:7], v1, off
	v_add_u32_e32 v0, 2, v4
	v_mov_b32_e32 v1, v5
	v_lshlrev_b64 v[0:1], 2, v[0:1]
	v_mov_b32_e32 v6, s21
	v_add_co_u32_e32 v0, vcc, s20, v0
	v_addc_co_u32_e32 v1, vcc, v6, v1, vcc
	v_add_u32_e32 v4, 3, v4
	global_store_dword v[0:1], v2, off
	v_lshlrev_b64 v[0:1], 2, v[4:5]
	v_mov_b32_e32 v2, s21
	v_add_co_u32_e32 v0, vcc, s20, v0
	v_addc_co_u32_e32 v1, vcc, v2, v1, vcc
	global_store_dword v[0:1], v3, off
                                        ; implicit-def: $vgpr10
                                        ; implicit-def: $vgpr43
                                        ; implicit-def: $vgpr8
                                        ; implicit-def: $vgpr4
                                        ; implicit-def: $vgpr41
                                        ; implicit-def: $vgpr5
                                        ; implicit-def: $vgpr42
.LBB93_50:
	s_andn2_saveexec_b64 s[6:7], s[6:7]
	s_cbranch_execz .LBB93_54
; %bb.51:
	v_cmp_gt_u32_e32 vcc, 4, v10
	s_and_b64 exec, exec, vcc
	s_cbranch_execz .LBB93_54
; %bb.52:
	v_mul_u32_u24_e32 v1, s5, v43
	v_lshl_or_b32 v0, s34, 6, v8
	s_lshl_b32 s4, s13, 6
	v_subrev_u32_e32 v2, s4, v0
	v_add3_u32 v0, s17, v4, v0
	v_add3_u32 v1, v1, v41, v5
	v_and_b32_e32 v4, 15, v42
	v_add_u32_e32 v3, 4, v2
	v_add_lshl_u32 v1, v1, v4, 4
	v_min_u32_e32 v3, s12, v3
	v_subrev_u32_e32 v0, s4, v0
	v_lshl_add_u32 v1, s34, 8, v1
	s_lshl_b32 s4, s13, 8
	v_sub_u32_e32 v2, v2, v3
	v_subrev_u32_e32 v1, s4, v1
	v_lshlrev_b32_e32 v3, 2, v3
	v_sub_u32_e32 v1, v1, v3
	v_add_u32_e32 v2, 3, v2
	v_add_u32_e32 v3, 16, v1
	s_mov_b64 s[6:7], 0
	v_mov_b32_e32 v1, 0
	v_mov_b32_e32 v4, s21
.LBB93_53:                              ; =>This Inner Loop Header: Depth=1
	ds_read_b32 v7, v3
	v_lshlrev_b64 v[5:6], 2, v[0:1]
	v_add_u32_e32 v2, 1, v2
	v_cmp_lt_u32_e32 vcc, 2, v2
	v_add_co_u32_e64 v5, s[4:5], s20, v5
	v_add_u32_e32 v0, 1, v0
	v_add_u32_e32 v3, 4, v3
	v_addc_co_u32_e64 v6, s[4:5], v4, v6, s[4:5]
	s_or_b64 s[6:7], vcc, s[6:7]
	s_waitcnt lgkmcnt(0)
	global_store_dword v[5:6], v7, off
	s_andn2_b64 exec, exec, s[6:7]
	s_cbranch_execnz .LBB93_53
.LBB93_54:
	s_endpgm
	.section	.rodata,"a",@progbits
	.p2align	6, 0x0
	.amdhsa_kernel Transform_I32_S_010_16_16_VW_4
		.amdhsa_group_segment_fixed_size 16384
		.amdhsa_private_segment_fixed_size 64
		.amdhsa_kernarg_size 344
		.amdhsa_user_sgpr_count 10
		.amdhsa_user_sgpr_private_segment_buffer 1
		.amdhsa_user_sgpr_dispatch_ptr 1
		.amdhsa_user_sgpr_queue_ptr 0
		.amdhsa_user_sgpr_kernarg_segment_ptr 1
		.amdhsa_user_sgpr_dispatch_id 0
		.amdhsa_user_sgpr_flat_scratch_init 1
		.amdhsa_user_sgpr_private_segment_size 0
		.amdhsa_uses_dynamic_stack 0
		.amdhsa_system_sgpr_private_segment_wavefront_offset 1
		.amdhsa_system_sgpr_workgroup_id_x 1
		.amdhsa_system_sgpr_workgroup_id_y 0
		.amdhsa_system_sgpr_workgroup_id_z 1
		.amdhsa_system_sgpr_workgroup_info 0
		.amdhsa_system_vgpr_workitem_id 2
		.amdhsa_next_free_vgpr 44
		.amdhsa_next_free_sgpr 36
		.amdhsa_reserve_vcc 1
		.amdhsa_reserve_flat_scratch 1
		.amdhsa_float_round_mode_32 0
		.amdhsa_float_round_mode_16_64 0
		.amdhsa_float_denorm_mode_32 3
		.amdhsa_float_denorm_mode_16_64 3
		.amdhsa_dx10_clamp 1
		.amdhsa_ieee_mode 1
		.amdhsa_fp16_overflow 0
		.amdhsa_exception_fp_ieee_invalid_op 0
		.amdhsa_exception_fp_denorm_src 0
		.amdhsa_exception_fp_ieee_div_zero 0
		.amdhsa_exception_fp_ieee_overflow 0
		.amdhsa_exception_fp_ieee_underflow 0
		.amdhsa_exception_fp_ieee_inexact 0
		.amdhsa_exception_int_div_zero 0
	.end_amdhsa_kernel
	.text
.Lfunc_end93:
	.size	Transform_I32_S_010_16_16_VW_4, .Lfunc_end93-Transform_I32_S_010_16_16_VW_4
                                        ; -- End function
	.set Transform_I32_S_010_16_16_VW_4.num_vgpr, max(44, .L__assert_fail.num_vgpr)
	.set Transform_I32_S_010_16_16_VW_4.num_agpr, max(0, .L__assert_fail.num_agpr)
	.set Transform_I32_S_010_16_16_VW_4.numbered_sgpr, max(36, .L__assert_fail.numbered_sgpr)
	.set Transform_I32_S_010_16_16_VW_4.num_named_barrier, max(0, .L__assert_fail.num_named_barrier)
	.set Transform_I32_S_010_16_16_VW_4.private_seg_size, 0+max(.L__assert_fail.private_seg_size)
	.set Transform_I32_S_010_16_16_VW_4.uses_vcc, or(1, .L__assert_fail.uses_vcc)
	.set Transform_I32_S_010_16_16_VW_4.uses_flat_scratch, or(1, .L__assert_fail.uses_flat_scratch)
	.set Transform_I32_S_010_16_16_VW_4.has_dyn_sized_stack, or(0, .L__assert_fail.has_dyn_sized_stack)
	.set Transform_I32_S_010_16_16_VW_4.has_recursion, or(0, .L__assert_fail.has_recursion)
	.set Transform_I32_S_010_16_16_VW_4.has_indirect_call, or(0, .L__assert_fail.has_indirect_call)
	.section	.AMDGPU.csdata,"",@progbits
; Kernel info:
; codeLenInByte = 1752
; TotalNumSgprs: 42
; NumVgprs: 44
; ScratchSize: 64
; MemoryBound: 0
; FloatMode: 240
; IeeeMode: 1
; LDSByteSize: 16384 bytes/workgroup (compile time only)
; SGPRBlocks: 5
; VGPRBlocks: 10
; NumSGPRsForWavesPerEU: 42
; NumVGPRsForWavesPerEU: 44
; Occupancy: 5
; WaveLimiterHint : 1
; COMPUTE_PGM_RSRC2:SCRATCH_EN: 1
; COMPUTE_PGM_RSRC2:USER_SGPR: 10
; COMPUTE_PGM_RSRC2:TRAP_HANDLER: 0
; COMPUTE_PGM_RSRC2:TGID_X_EN: 1
; COMPUTE_PGM_RSRC2:TGID_Y_EN: 0
; COMPUTE_PGM_RSRC2:TGID_Z_EN: 1
; COMPUTE_PGM_RSRC2:TIDIG_COMP_CNT: 2
	.text
	.protected	Transform_I32_S_001_16_16_VW_1 ; -- Begin function Transform_I32_S_001_16_16_VW_1
	.globl	Transform_I32_S_001_16_16_VW_1
	.p2align	8
	.type	Transform_I32_S_001_16_16_VW_1,@function
Transform_I32_S_001_16_16_VW_1:         ; @Transform_I32_S_001_16_16_VW_1
; %bb.0:
	s_mov_b64 s[26:27], s[4:5]
	s_load_dword s4, s[4:5], 0x64
	s_add_u32 flat_scratch_lo, s6, s10
	s_addc_u32 flat_scratch_hi, s7, 0
	s_add_u32 s0, s0, s10
	s_addc_u32 s1, s1, 0
	s_waitcnt lgkmcnt(0)
	s_and_b32 s4, s4, 0xffff
	s_mov_b32 s28, s9
	s_mov_b32 s29, s8
	v_mov_b32_e32 v41, v0
	s_cmpk_eq_i32 s4, 0x100
	s_mov_b64 s[4:5], -1
	s_mov_b32 s32, 0
	s_cbranch_scc1 .LBB94_2
; %bb.1:
	s_add_u32 s8, s26, 0x58
	s_addc_u32 s9, s27, 0
	s_getpc_b64 s[4:5]
	s_add_u32 s4, s4, __PRETTY_FUNCTION__._ZN10amd_detail9transformIifLb0ELb0ELb1ELj16ELj16ELj1EEEvPT_PKS1_S4_T0_PKS5_S5_S7_jjjjjjbb@rel32@lo+4
	s_addc_u32 s5, s5, __PRETTY_FUNCTION__._ZN10amd_detail9transformIifLb0ELb0ELb1ELj16ELj16ELj1EEEvPT_PKS1_S4_T0_PKS5_S5_S7_jjjjjjbb@rel32@hi+12
	s_getpc_b64 s[6:7]
	s_add_u32 s6, s6, __assert_fail@rel32@lo+4
	s_addc_u32 s7, s7, __assert_fail@rel32@hi+12
	v_mov_b32_e32 v0, s4
	v_mov_b32_e32 v1, s5
	s_swappc_b64 s[30:31], s[6:7]
	s_mov_b64 s[4:5], 0
	; divergent unreachable
.LBB94_2:
	s_andn2_b64 vcc, exec, s[4:5]
	s_cbranch_vccnz .LBB94_13
; %bb.3:
	s_load_dwordx8 s[4:11], s[26:27], 0x38
	s_waitcnt lgkmcnt(0)
	s_lshr_b32 s11, s4, 4
	s_and_b32 s12, s4, 15
	s_cmp_lg_u32 s12, 0
	s_cselect_b64 s[12:13], -1, 0
	s_cmp_lg_u64 s[12:13], 0
	s_addc_u32 s11, s11, 0
	v_cvt_f32_u32_e32 v0, s11
	s_load_dword s15, s[26:27], 0x18
	s_load_dwordx2 s[12:13], s[26:27], 0x20
	s_sub_i32 s14, 0, s11
	v_rcp_iflag_f32_e32 v0, v0
	v_mul_f32_e32 v0, 0x4f7ffffe, v0
	v_cvt_u32_f32_e32 v0, v0
	v_readfirstlane_b32 s16, v0
	s_mul_i32 s14, s14, s16
	s_mul_hi_u32 s14, s16, s14
	s_add_i32 s16, s16, s14
	s_mul_hi_u32 s14, s29, s16
	s_waitcnt lgkmcnt(0)
	s_cmp_eq_u64 s[12:13], 0
	v_mov_b32_e32 v0, s15
	s_cbranch_scc1 .LBB94_5
; %bb.4:
	v_mov_b32_e32 v0, 0
	global_load_dword v0, v0, s[12:13]
.LBB94_5:
	s_load_dwordx2 s[12:13], s[26:27], 0x30
	s_load_dword s15, s[26:27], 0x28
	s_waitcnt lgkmcnt(0)
	s_cmp_eq_u64 s[12:13], 0
	v_mov_b32_e32 v1, s15
	s_cbranch_scc1 .LBB94_7
; %bb.6:
	v_mov_b32_e32 v1, 0
	global_load_dword v1, v1, s[12:13]
.LBB94_7:
	s_mul_i32 s12, s14, s11
	s_sub_i32 s12, s29, s12
	s_add_i32 s13, s14, 1
	s_sub_i32 s15, s12, s11
	s_cmp_ge_u32 s12, s11
	s_cselect_b32 s13, s13, s14
	s_cselect_b32 s12, s15, s12
	s_add_i32 s14, s13, 1
	s_cmp_ge_u32 s12, s11
	s_cselect_b32 s12, s14, s13
	s_mul_i32 s11, s12, s11
	s_sub_i32 s11, s29, s11
	v_and_b32_e32 v2, 15, v41
	v_lshrrev_b32_e32 v4, 4, v41
	v_lshl_or_b32 v3, s11, 4, v2
	v_lshl_add_u32 v2, s12, 4, v4
	v_cmp_gt_u32_e32 vcc, s4, v3
	v_cmp_gt_u32_e64 s[4:5], s5, v2
	s_and_b64 s[4:5], vcc, s[4:5]
	s_and_saveexec_b64 s[12:13], s[4:5]
	s_cbranch_execz .LBB94_13
; %bb.8:
	s_load_dwordx4 s[12:15], s[26:27], 0x0
	s_load_dwordx2 s[4:5], s[26:27], 0x10
	s_mul_i32 s9, s9, s28
	v_mov_b32_e32 v5, 0
	v_mov_b32_e32 v4, 0
	s_waitcnt lgkmcnt(0)
	s_cmp_eq_u64 s[14:15], 0
	s_cbranch_scc1 .LBB94_10
; %bb.9:
	s_bitcmp1_b32 s10, 0
	s_cselect_b64 vcc, -1, 0
	v_cndmask_b32_e32 v4, v2, v3, vcc
	v_mul_lo_u32 v4, v4, s6
	v_cndmask_b32_e32 v6, v3, v2, vcc
	v_mov_b32_e32 v7, 0
	v_add3_u32 v6, v6, s9, v4
	v_lshlrev_b64 v[6:7], 2, v[6:7]
	v_mov_b32_e32 v4, s15
	v_add_co_u32_e32 v6, vcc, s14, v6
	v_addc_co_u32_e32 v7, vcc, v4, v7, vcc
	global_load_dword v4, v[6:7], off
	s_waitcnt vmcnt(0)
	v_cvt_f32_i32_e32 v4, v4
.LBB94_10:
	s_cmp_eq_u64 s[4:5], 0
	s_cbranch_scc1 .LBB94_12
; %bb.11:
	s_load_dword s6, s[26:27], 0x50
	v_mov_b32_e32 v6, 0
	v_mov_b32_e32 v7, s5
	s_waitcnt lgkmcnt(0)
	s_bitcmp1_b32 s6, 8
	s_cselect_b64 vcc, -1, 0
	v_cndmask_b32_e32 v5, v2, v3, vcc
	v_mul_lo_u32 v5, v5, s7
	v_cndmask_b32_e32 v8, v3, v2, vcc
	v_add3_u32 v5, v8, s9, v5
	v_lshlrev_b64 v[5:6], 2, v[5:6]
	v_add_co_u32_e32 v5, vcc, s4, v5
	v_addc_co_u32_e32 v6, vcc, v7, v6, vcc
	global_load_dword v5, v[5:6], off
	s_waitcnt vmcnt(0)
	v_cvt_f32_i32_e32 v5, v5
.LBB94_12:
	v_mul_lo_u32 v3, v3, s8
	s_waitcnt vmcnt(0)
	v_mul_f32_e32 v1, v1, v5
	v_fmac_f32_e32 v1, v0, v4
	v_cvt_i32_f32_e32 v4, v1
	v_add3_u32 v0, v2, s9, v3
	v_mov_b32_e32 v1, 0
	v_lshlrev_b64 v[0:1], 2, v[0:1]
	v_mov_b32_e32 v2, s13
	v_add_co_u32_e32 v0, vcc, s12, v0
	v_addc_co_u32_e32 v1, vcc, v2, v1, vcc
	global_store_dword v[0:1], v4, off
.LBB94_13:
	s_endpgm
	.section	.rodata,"a",@progbits
	.p2align	6, 0x0
	.amdhsa_kernel Transform_I32_S_001_16_16_VW_1
		.amdhsa_group_segment_fixed_size 0
		.amdhsa_private_segment_fixed_size 64
		.amdhsa_kernarg_size 344
		.amdhsa_user_sgpr_count 8
		.amdhsa_user_sgpr_private_segment_buffer 1
		.amdhsa_user_sgpr_dispatch_ptr 0
		.amdhsa_user_sgpr_queue_ptr 0
		.amdhsa_user_sgpr_kernarg_segment_ptr 1
		.amdhsa_user_sgpr_dispatch_id 0
		.amdhsa_user_sgpr_flat_scratch_init 1
		.amdhsa_user_sgpr_private_segment_size 0
		.amdhsa_uses_dynamic_stack 0
		.amdhsa_system_sgpr_private_segment_wavefront_offset 1
		.amdhsa_system_sgpr_workgroup_id_x 1
		.amdhsa_system_sgpr_workgroup_id_y 0
		.amdhsa_system_sgpr_workgroup_id_z 1
		.amdhsa_system_sgpr_workgroup_info 0
		.amdhsa_system_vgpr_workitem_id 0
		.amdhsa_next_free_vgpr 42
		.amdhsa_next_free_sgpr 34
		.amdhsa_reserve_vcc 1
		.amdhsa_reserve_flat_scratch 1
		.amdhsa_float_round_mode_32 0
		.amdhsa_float_round_mode_16_64 0
		.amdhsa_float_denorm_mode_32 3
		.amdhsa_float_denorm_mode_16_64 3
		.amdhsa_dx10_clamp 1
		.amdhsa_ieee_mode 1
		.amdhsa_fp16_overflow 0
		.amdhsa_exception_fp_ieee_invalid_op 0
		.amdhsa_exception_fp_denorm_src 0
		.amdhsa_exception_fp_ieee_div_zero 0
		.amdhsa_exception_fp_ieee_overflow 0
		.amdhsa_exception_fp_ieee_underflow 0
		.amdhsa_exception_fp_ieee_inexact 0
		.amdhsa_exception_int_div_zero 0
	.end_amdhsa_kernel
	.text
.Lfunc_end94:
	.size	Transform_I32_S_001_16_16_VW_1, .Lfunc_end94-Transform_I32_S_001_16_16_VW_1
                                        ; -- End function
	.set Transform_I32_S_001_16_16_VW_1.num_vgpr, max(42, .L__assert_fail.num_vgpr)
	.set Transform_I32_S_001_16_16_VW_1.num_agpr, max(0, .L__assert_fail.num_agpr)
	.set Transform_I32_S_001_16_16_VW_1.numbered_sgpr, max(33, .L__assert_fail.numbered_sgpr)
	.set Transform_I32_S_001_16_16_VW_1.num_named_barrier, max(0, .L__assert_fail.num_named_barrier)
	.set Transform_I32_S_001_16_16_VW_1.private_seg_size, 0+max(.L__assert_fail.private_seg_size)
	.set Transform_I32_S_001_16_16_VW_1.uses_vcc, or(1, .L__assert_fail.uses_vcc)
	.set Transform_I32_S_001_16_16_VW_1.uses_flat_scratch, or(1, .L__assert_fail.uses_flat_scratch)
	.set Transform_I32_S_001_16_16_VW_1.has_dyn_sized_stack, or(0, .L__assert_fail.has_dyn_sized_stack)
	.set Transform_I32_S_001_16_16_VW_1.has_recursion, or(0, .L__assert_fail.has_recursion)
	.set Transform_I32_S_001_16_16_VW_1.has_indirect_call, or(0, .L__assert_fail.has_indirect_call)
	.section	.AMDGPU.csdata,"",@progbits
; Kernel info:
; codeLenInByte = 680
; TotalNumSgprs: 40
; NumVgprs: 42
; ScratchSize: 64
; MemoryBound: 0
; FloatMode: 240
; IeeeMode: 1
; LDSByteSize: 0 bytes/workgroup (compile time only)
; SGPRBlocks: 4
; VGPRBlocks: 10
; NumSGPRsForWavesPerEU: 40
; NumVGPRsForWavesPerEU: 42
; Occupancy: 5
; WaveLimiterHint : 1
; COMPUTE_PGM_RSRC2:SCRATCH_EN: 1
; COMPUTE_PGM_RSRC2:USER_SGPR: 8
; COMPUTE_PGM_RSRC2:TRAP_HANDLER: 0
; COMPUTE_PGM_RSRC2:TGID_X_EN: 1
; COMPUTE_PGM_RSRC2:TGID_Y_EN: 0
; COMPUTE_PGM_RSRC2:TGID_Z_EN: 1
; COMPUTE_PGM_RSRC2:TIDIG_COMP_CNT: 0
	.text
	.protected	Transform_I32_S_001_16_16_VW_4 ; -- Begin function Transform_I32_S_001_16_16_VW_4
	.globl	Transform_I32_S_001_16_16_VW_4
	.p2align	8
	.type	Transform_I32_S_001_16_16_VW_4,@function
Transform_I32_S_001_16_16_VW_4:         ; @Transform_I32_S_001_16_16_VW_4
; %bb.0:
	s_mov_b64 s[26:27], s[4:5]
	s_load_dword s4, s[6:7], 0x64
	s_add_u32 flat_scratch_lo, s8, s12
	s_addc_u32 flat_scratch_hi, s9, 0
	s_add_u32 s0, s0, s12
	s_addc_u32 s1, s1, 0
	s_waitcnt lgkmcnt(0)
	s_and_b32 s4, s4, 0xffff
	s_mov_b32 s35, s11
	s_mov_b32 s34, s10
	s_mov_b64 s[28:29], s[6:7]
	v_mov_b32_e32 v41, v2
	v_mov_b32_e32 v43, v1
	;; [unrolled: 1-line block ×3, first 2 shown]
	s_cmpk_eq_i32 s4, 0x100
	s_mov_b64 s[4:5], -1
	s_mov_b32 s32, 0
	s_cbranch_scc1 .LBB95_2
; %bb.1:
	s_add_u32 s8, s28, 0x58
	s_addc_u32 s9, s29, 0
	s_getpc_b64 s[4:5]
	s_add_u32 s4, s4, __PRETTY_FUNCTION__._ZN10amd_detail9transformIifLb0ELb0ELb1ELj16ELj16ELj4EEEvPT_PKS1_S4_T0_PKS5_S5_S7_jjjjjjbb@rel32@lo+4
	s_addc_u32 s5, s5, __PRETTY_FUNCTION__._ZN10amd_detail9transformIifLb0ELb0ELb1ELj16ELj16ELj4EEEvPT_PKS1_S4_T0_PKS5_S5_S7_jjjjjjbb@rel32@hi+12
	s_getpc_b64 s[6:7]
	s_add_u32 s6, s6, __assert_fail@rel32@lo+4
	s_addc_u32 s7, s7, __assert_fail@rel32@hi+12
	v_mov_b32_e32 v0, s4
	v_mov_b32_e32 v1, s5
	s_swappc_b64 s[30:31], s[6:7]
	s_mov_b64 s[4:5], 0
	; divergent unreachable
.LBB95_2:
	s_andn2_b64 vcc, exec, s[4:5]
	s_cbranch_vccnz .LBB95_54
; %bb.3:
	s_load_dwordx4 s[12:15], s[28:29], 0x38
	s_waitcnt lgkmcnt(0)
	s_lshr_b32 s6, s12, 4
	s_and_b32 s4, s12, 15
	s_cmp_lg_u32 s4, 0
	s_cselect_b64 s[4:5], -1, 0
	s_cmp_lg_u64 s[4:5], 0
	s_addc_u32 s6, s6, 0
	v_cvt_f32_u32_e32 v0, s6
	s_load_dword s8, s[28:29], 0x18
	s_load_dwordx2 s[4:5], s[28:29], 0x20
	s_sub_i32 s7, 0, s6
	v_rcp_iflag_f32_e32 v0, v0
	s_waitcnt lgkmcnt(0)
	v_mov_b32_e32 v13, s8
	v_mul_f32_e32 v0, 0x4f7ffffe, v0
	v_cvt_u32_f32_e32 v0, v0
	v_readfirstlane_b32 s9, v0
	s_mul_i32 s7, s7, s9
	s_mul_hi_u32 s7, s9, s7
	s_add_i32 s9, s9, s7
	s_mul_hi_u32 s7, s34, s9
	s_cmp_eq_u64 s[4:5], 0
	s_cbranch_scc1 .LBB95_5
; %bb.4:
	v_mov_b32_e32 v0, 0
	global_load_dword v13, v0, s[4:5]
.LBB95_5:
	s_load_dwordx2 s[4:5], s[28:29], 0x30
	s_load_dword s8, s[28:29], 0x28
	s_waitcnt lgkmcnt(0)
	s_cmp_eq_u64 s[4:5], 0
	v_mov_b32_e32 v14, s8
	s_cbranch_scc1 .LBB95_7
; %bb.6:
	v_mov_b32_e32 v0, 0
	global_load_dword v14, v0, s[4:5]
.LBB95_7:
	s_mul_i32 s4, s7, s6
	s_sub_i32 s4, s34, s4
	s_add_i32 s5, s7, 1
	s_sub_i32 s8, s4, s6
	s_cmp_ge_u32 s4, s6
	s_cselect_b32 s5, s5, s7
	s_cselect_b32 s4, s8, s4
	s_add_i32 s7, s5, 1
	s_cmp_ge_u32 s4, s6
	s_cselect_b32 s30, s7, s5
	s_mul_i32 s31, s30, s6
	s_sub_i32 s4, s34, s31
	v_and_b32_e32 v8, 15, v42
	v_lshl_or_b32 v4, s4, 4, v8
	v_cmp_gt_u32_e32 vcc, s12, v4
	s_and_saveexec_b64 s[4:5], vcc
	s_cbranch_execz .LBB95_54
; %bb.8:
	v_lshrrev_b32_e32 v0, 2, v42
	s_lshl_b32 s12, s30, 6
	v_and_b32_e32 v10, 0xfc, v0
	s_load_dwordx4 s[20:23], s[28:29], 0x48
	v_add_u32_e32 v9, s12, v10
	v_add_u32_e32 v12, 4, v9
	v_sub_u32_e64 v11, v12, s13 clamp
	s_load_dwordx4 s[16:19], s[28:29], 0x0
	s_load_dwordx2 s[24:25], s[28:29], 0x10
	v_sub_u32_e32 v3, v9, v11
	v_mad_u64_u32 v[0:1], s[4:5], v4, s14, v[3:4]
	s_waitcnt lgkmcnt(0)
	s_bitcmp1_b32 s22, 0
	s_cselect_b64 vcc, -1, 0
	s_cmp_lg_u64 s[18:19], 0
	s_mul_i32 s21, s21, s35
	s_cselect_b64 s[10:11], -1, 0
	s_cmp_eq_u64 s[18:19], 0
	v_mov_b32_e32 v16, 0
	v_mov_b32_e32 v15, 0
	s_cbranch_scc1 .LBB95_10
; %bb.9:
	v_mad_u64_u32 v[1:2], s[4:5], v3, s14, v[4:5]
	v_mov_b32_e32 v2, 0
	v_mov_b32_e32 v5, s19
	v_cndmask_b32_e32 v1, v1, v0, vcc
	v_add_u32_e32 v1, s21, v1
	v_lshlrev_b64 v[1:2], 2, v[1:2]
	v_add_co_u32_e64 v1, s[4:5], s18, v1
	v_addc_co_u32_e64 v2, s[4:5], v5, v2, s[4:5]
	global_load_dword v1, v[1:2], off
	s_waitcnt vmcnt(0)
	v_cvt_f32_i32_e32 v15, v1
.LBB95_10:
	s_load_dword s6, s[28:29], 0x50
	s_xor_b64 s[8:9], vcc, -1
	v_mad_u64_u32 v[1:2], s[4:5], v4, s15, v[3:4]
	s_waitcnt lgkmcnt(0)
	s_bitcmp1_b32 s6, 8
	s_cselect_b64 s[6:7], -1, 0
	s_cmp_lg_u64 s[24:25], 0
	s_cselect_b64 s[22:23], -1, 0
	s_cmp_eq_u64 s[24:25], 0
	s_cbranch_scc1 .LBB95_12
; %bb.11:
	v_mad_u64_u32 v[5:6], s[4:5], v3, s15, v[4:5]
	v_mov_b32_e32 v6, 0
	v_mov_b32_e32 v2, s25
	v_cndmask_b32_e64 v5, v5, v1, s[6:7]
	v_add_u32_e32 v5, s21, v5
	v_lshlrev_b64 v[5:6], 2, v[5:6]
	v_add_co_u32_e32 v5, vcc, s24, v5
	v_addc_co_u32_e32 v6, vcc, v2, v6, vcc
	global_load_dword v2, v[5:6], off
	s_waitcnt vmcnt(0)
	v_cvt_f32_i32_e32 v16, v2
.LBB95_12:
	v_cndmask_b32_e64 v2, 0, 1, s[8:9]
	v_cmp_ne_u32_e64 s[4:5], 1, v2
	s_andn2_b64 vcc, exec, s[8:9]
	s_cbranch_vccnz .LBB95_14
; %bb.13:
	v_mul_lo_u32 v2, s14, v3
	v_add3_u32 v2, v2, s14, v4
	s_xor_b64 s[8:9], s[6:7], -1
	s_cbranch_execz .LBB95_15
	s_branch .LBB95_16
.LBB95_14:
                                        ; implicit-def: $vgpr2
	s_xor_b64 s[8:9], s[6:7], -1
.LBB95_15:
	v_add_u32_e32 v2, 1, v0
.LBB95_16:
	v_cndmask_b32_e64 v5, 0, 1, s[8:9]
	v_cmp_ne_u32_e64 s[6:7], 1, v5
	s_andn2_b64 vcc, exec, s[8:9]
	s_cbranch_vccnz .LBB95_18
; %bb.17:
	v_mul_lo_u32 v5, s15, v3
	v_add3_u32 v5, v5, s15, v4
	s_cbranch_execz .LBB95_19
	s_branch .LBB95_20
.LBB95_18:
                                        ; implicit-def: $vgpr5
.LBB95_19:
	v_add_u32_e32 v5, 1, v1
.LBB95_20:
	v_cndmask_b32_e64 v6, 0, 1, s[10:11]
	v_mov_b32_e32 v18, 0
	v_cmp_ne_u32_e64 s[8:9], 1, v6
	s_andn2_b64 vcc, exec, s[10:11]
	v_mov_b32_e32 v17, 0
	s_cbranch_vccnz .LBB95_22
; %bb.21:
	v_add_u32_e32 v6, s21, v2
	v_mov_b32_e32 v7, 0
	v_lshlrev_b64 v[6:7], 2, v[6:7]
	v_mov_b32_e32 v2, s19
	v_add_co_u32_e32 v6, vcc, s18, v6
	v_addc_co_u32_e32 v7, vcc, v2, v7, vcc
	global_load_dword v2, v[6:7], off
	s_waitcnt vmcnt(0)
	v_cvt_f32_i32_e32 v17, v2
.LBB95_22:
	v_cndmask_b32_e64 v2, 0, 1, s[22:23]
	v_cmp_ne_u32_e64 s[10:11], 1, v2
	s_andn2_b64 vcc, exec, s[22:23]
	s_cbranch_vccnz .LBB95_24
; %bb.23:
	v_add_u32_e32 v5, s21, v5
	v_mov_b32_e32 v6, 0
	v_lshlrev_b64 v[5:6], 2, v[5:6]
	v_mov_b32_e32 v2, s25
	v_add_co_u32_e32 v5, vcc, s24, v5
	v_addc_co_u32_e32 v6, vcc, v2, v6, vcc
	global_load_dword v2, v[5:6], off
	s_waitcnt vmcnt(0)
	v_cvt_f32_i32_e32 v18, v2
.LBB95_24:
	s_and_b64 vcc, exec, s[4:5]
	v_add_u32_e32 v2, 2, v3
	s_cbranch_vccnz .LBB95_26
; %bb.25:
	v_mad_u64_u32 v[5:6], s[22:23], v2, s14, v[4:5]
	s_cbranch_execz .LBB95_27
	s_branch .LBB95_28
.LBB95_26:
                                        ; implicit-def: $vgpr5
.LBB95_27:
	v_add_u32_e32 v5, 2, v0
.LBB95_28:
	s_and_b64 vcc, exec, s[6:7]
	s_cbranch_vccnz .LBB95_30
; %bb.29:
	v_mad_u64_u32 v[6:7], s[22:23], v2, s15, v[4:5]
	s_cbranch_execz .LBB95_31
	s_branch .LBB95_32
.LBB95_30:
                                        ; implicit-def: $vgpr6
.LBB95_31:
	v_add_u32_e32 v6, 2, v1
.LBB95_32:
	v_mov_b32_e32 v19, 0
	s_and_b64 vcc, exec, s[8:9]
	v_mov_b32_e32 v7, 0
	s_cbranch_vccnz .LBB95_34
; %bb.33:
	v_add_u32_e32 v20, s21, v5
	v_mov_b32_e32 v21, 0
	v_lshlrev_b64 v[20:21], 2, v[20:21]
	v_mov_b32_e32 v2, s19
	v_add_co_u32_e32 v20, vcc, s18, v20
	v_addc_co_u32_e32 v21, vcc, v2, v21, vcc
	global_load_dword v2, v[20:21], off
	s_waitcnt vmcnt(0)
	v_cvt_f32_i32_e32 v7, v2
.LBB95_34:
	s_and_b64 vcc, exec, s[10:11]
	s_cbranch_vccnz .LBB95_36
; %bb.35:
	v_add_u32_e32 v5, s21, v6
	v_mov_b32_e32 v6, 0
	v_lshlrev_b64 v[5:6], 2, v[5:6]
	v_mov_b32_e32 v2, s25
	v_add_co_u32_e32 v5, vcc, s24, v5
	v_addc_co_u32_e32 v6, vcc, v2, v6, vcc
	global_load_dword v2, v[5:6], off
	s_waitcnt vmcnt(0)
	v_cvt_f32_i32_e32 v19, v2
.LBB95_36:
	s_and_b64 vcc, exec, s[4:5]
	v_add_u32_e32 v5, 3, v3
	s_cbranch_vccnz .LBB95_38
; %bb.37:
	v_mad_u64_u32 v[2:3], s[4:5], v5, s14, v[4:5]
	s_cbranch_execz .LBB95_39
	s_branch .LBB95_40
.LBB95_38:
                                        ; implicit-def: $vgpr2
.LBB95_39:
	v_add_u32_e32 v2, 3, v0
.LBB95_40:
	s_and_b64 vcc, exec, s[6:7]
	s_cbranch_vccnz .LBB95_42
; %bb.41:
	v_mad_u64_u32 v[5:6], s[4:5], v5, s15, v[4:5]
	s_cbranch_execz .LBB95_43
	s_branch .LBB95_44
.LBB95_42:
                                        ; implicit-def: $vgpr5
.LBB95_43:
	v_add_u32_e32 v5, 3, v1
.LBB95_44:
	v_mov_b32_e32 v6, 0
	s_and_b64 vcc, exec, s[8:9]
	v_mov_b32_e32 v3, 0
	s_cbranch_vccnz .LBB95_46
; %bb.45:
	v_add_u32_e32 v0, s21, v2
	v_mov_b32_e32 v1, 0
	v_lshlrev_b64 v[0:1], 2, v[0:1]
	v_mov_b32_e32 v2, s19
	v_add_co_u32_e32 v0, vcc, s18, v0
	v_addc_co_u32_e32 v1, vcc, v2, v1, vcc
	global_load_dword v0, v[0:1], off
	s_waitcnt vmcnt(0)
	v_cvt_f32_i32_e32 v3, v0
.LBB95_46:
	s_and_b64 vcc, exec, s[10:11]
	s_cbranch_vccnz .LBB95_48
; %bb.47:
	v_add_u32_e32 v0, s21, v5
	v_mov_b32_e32 v1, 0
	v_lshlrev_b64 v[0:1], 2, v[0:1]
	v_mov_b32_e32 v2, s25
	v_add_co_u32_e32 v0, vcc, s24, v0
	v_addc_co_u32_e32 v1, vcc, v2, v1, vcc
	global_load_dword v0, v[0:1], off
	s_waitcnt vmcnt(0)
	v_cvt_f32_i32_e32 v6, v0
.LBB95_48:
	s_load_dwordx2 s[4:5], s[26:27], 0x4
	s_waitcnt vmcnt(0)
	v_mul_f32_e32 v0, v14, v16
	v_mul_f32_e32 v1, v14, v18
	;; [unrolled: 1-line block ×4, first 2 shown]
	s_waitcnt lgkmcnt(0)
	s_lshr_b32 s4, s4, 16
	s_mul_i32 s4, s4, s5
	v_mul_lo_u32 v5, s4, v42
	v_fmac_f32_e32 v0, v13, v15
	v_fmac_f32_e32 v1, v13, v17
	;; [unrolled: 1-line block ×4, first 2 shown]
	v_cvt_i32_f32_e32 v0, v0
	v_cvt_i32_f32_e32 v1, v1
	;; [unrolled: 1-line block ×4, first 2 shown]
	v_mad_u32_u24 v6, v43, s5, v5
	v_add_lshl_u32 v6, v6, v41, 4
	v_cmp_ge_u32_e32 vcc, s13, v12
	ds_write_b128 v6, v[0:3]
	s_and_saveexec_b64 s[6:7], vcc
	s_xor_b64 s[6:7], exec, s[6:7]
	s_cbranch_execz .LBB95_50
; %bb.49:
	v_mul_lo_u32 v4, v4, s20
	v_mov_b32_e32 v5, 0
	v_mov_b32_e32 v8, s17
                                        ; implicit-def: $vgpr10
                                        ; implicit-def: $vgpr12
                                        ; implicit-def: $vgpr42
                                        ; implicit-def: $vgpr43
                                        ; implicit-def: $vgpr41
	v_add3_u32 v4, v9, s21, v4
	v_sub_u32_e32 v4, v4, v11
	v_lshlrev_b64 v[6:7], 2, v[4:5]
                                        ; implicit-def: $vgpr9
                                        ; implicit-def: $vgpr11
	v_add_co_u32_e32 v6, vcc, s16, v6
	v_addc_co_u32_e32 v7, vcc, v8, v7, vcc
	global_store_dword v[6:7], v0, off
	v_add_u32_e32 v6, 1, v4
	v_mov_b32_e32 v7, v5
	v_lshlrev_b64 v[6:7], 2, v[6:7]
	v_mov_b32_e32 v0, s17
	v_add_co_u32_e32 v6, vcc, s16, v6
	v_addc_co_u32_e32 v7, vcc, v0, v7, vcc
	global_store_dword v[6:7], v1, off
	v_add_u32_e32 v0, 2, v4
	v_mov_b32_e32 v1, v5
	v_lshlrev_b64 v[0:1], 2, v[0:1]
	v_mov_b32_e32 v6, s17
	v_add_co_u32_e32 v0, vcc, s16, v0
	v_addc_co_u32_e32 v1, vcc, v6, v1, vcc
	v_add_u32_e32 v4, 3, v4
	global_store_dword v[0:1], v2, off
	v_lshlrev_b64 v[0:1], 2, v[4:5]
	v_mov_b32_e32 v2, s17
	v_add_co_u32_e32 v0, vcc, s16, v0
	v_addc_co_u32_e32 v1, vcc, v2, v1, vcc
	global_store_dword v[0:1], v3, off
                                        ; implicit-def: $vgpr8
                                        ; implicit-def: $vgpr5
.LBB95_50:
	s_andn2_saveexec_b64 s[6:7], s[6:7]
	s_cbranch_execz .LBB95_54
; %bb.51:
	v_cmp_gt_u32_e32 vcc, 4, v11
	s_and_b64 exec, exec, vcc
	s_cbranch_execz .LBB95_54
; %bb.52:
	v_lshl_or_b32 v0, s34, 4, v8
	s_lshl_b32 s4, s31, 4
	v_mul_u32_u24_e32 v1, s5, v43
	v_subrev_u32_e32 v0, s4, v0
	v_lshrrev_b32_e32 v4, 4, v42
	v_mul_lo_u32 v0, s20, v0
	v_add3_u32 v1, v1, v41, v4
	v_min_u32_e32 v3, s13, v12
	v_add_lshl_u32 v1, v1, v5, 4
	v_sub_u32_e32 v2, v9, v3
	v_lshl_add_u32 v1, s30, 8, v1
	v_lshlrev_b32_e32 v3, 2, v3
	s_add_i32 s12, s12, s21
	v_sub_u32_e32 v1, v1, v3
	v_add_u32_e32 v2, 3, v2
	v_add3_u32 v0, s12, v0, v10
	v_add_u32_e32 v3, 16, v1
	s_mov_b64 s[6:7], 0
	v_mov_b32_e32 v1, 0
	v_mov_b32_e32 v4, s17
.LBB95_53:                              ; =>This Inner Loop Header: Depth=1
	ds_read_b32 v7, v3
	v_lshlrev_b64 v[5:6], 2, v[0:1]
	v_add_u32_e32 v2, 1, v2
	v_cmp_lt_u32_e32 vcc, 2, v2
	v_add_co_u32_e64 v5, s[4:5], s16, v5
	v_add_u32_e32 v0, 1, v0
	v_add_u32_e32 v3, 4, v3
	v_addc_co_u32_e64 v6, s[4:5], v4, v6, s[4:5]
	s_or_b64 s[6:7], vcc, s[6:7]
	s_waitcnt lgkmcnt(0)
	global_store_dword v[5:6], v7, off
	s_andn2_b64 exec, exec, s[6:7]
	s_cbranch_execnz .LBB95_53
.LBB95_54:
	s_endpgm
	.section	.rodata,"a",@progbits
	.p2align	6, 0x0
	.amdhsa_kernel Transform_I32_S_001_16_16_VW_4
		.amdhsa_group_segment_fixed_size 16384
		.amdhsa_private_segment_fixed_size 64
		.amdhsa_kernarg_size 344
		.amdhsa_user_sgpr_count 10
		.amdhsa_user_sgpr_private_segment_buffer 1
		.amdhsa_user_sgpr_dispatch_ptr 1
		.amdhsa_user_sgpr_queue_ptr 0
		.amdhsa_user_sgpr_kernarg_segment_ptr 1
		.amdhsa_user_sgpr_dispatch_id 0
		.amdhsa_user_sgpr_flat_scratch_init 1
		.amdhsa_user_sgpr_private_segment_size 0
		.amdhsa_uses_dynamic_stack 0
		.amdhsa_system_sgpr_private_segment_wavefront_offset 1
		.amdhsa_system_sgpr_workgroup_id_x 1
		.amdhsa_system_sgpr_workgroup_id_y 0
		.amdhsa_system_sgpr_workgroup_id_z 1
		.amdhsa_system_sgpr_workgroup_info 0
		.amdhsa_system_vgpr_workitem_id 2
		.amdhsa_next_free_vgpr 44
		.amdhsa_next_free_sgpr 36
		.amdhsa_reserve_vcc 1
		.amdhsa_reserve_flat_scratch 1
		.amdhsa_float_round_mode_32 0
		.amdhsa_float_round_mode_16_64 0
		.amdhsa_float_denorm_mode_32 3
		.amdhsa_float_denorm_mode_16_64 3
		.amdhsa_dx10_clamp 1
		.amdhsa_ieee_mode 1
		.amdhsa_fp16_overflow 0
		.amdhsa_exception_fp_ieee_invalid_op 0
		.amdhsa_exception_fp_denorm_src 0
		.amdhsa_exception_fp_ieee_div_zero 0
		.amdhsa_exception_fp_ieee_overflow 0
		.amdhsa_exception_fp_ieee_underflow 0
		.amdhsa_exception_fp_ieee_inexact 0
		.amdhsa_exception_int_div_zero 0
	.end_amdhsa_kernel
	.text
.Lfunc_end95:
	.size	Transform_I32_S_001_16_16_VW_4, .Lfunc_end95-Transform_I32_S_001_16_16_VW_4
                                        ; -- End function
	.set Transform_I32_S_001_16_16_VW_4.num_vgpr, max(44, .L__assert_fail.num_vgpr)
	.set Transform_I32_S_001_16_16_VW_4.num_agpr, max(0, .L__assert_fail.num_agpr)
	.set Transform_I32_S_001_16_16_VW_4.numbered_sgpr, max(36, .L__assert_fail.numbered_sgpr)
	.set Transform_I32_S_001_16_16_VW_4.num_named_barrier, max(0, .L__assert_fail.num_named_barrier)
	.set Transform_I32_S_001_16_16_VW_4.private_seg_size, 0+max(.L__assert_fail.private_seg_size)
	.set Transform_I32_S_001_16_16_VW_4.uses_vcc, or(1, .L__assert_fail.uses_vcc)
	.set Transform_I32_S_001_16_16_VW_4.uses_flat_scratch, or(1, .L__assert_fail.uses_flat_scratch)
	.set Transform_I32_S_001_16_16_VW_4.has_dyn_sized_stack, or(0, .L__assert_fail.has_dyn_sized_stack)
	.set Transform_I32_S_001_16_16_VW_4.has_recursion, or(0, .L__assert_fail.has_recursion)
	.set Transform_I32_S_001_16_16_VW_4.has_indirect_call, or(0, .L__assert_fail.has_indirect_call)
	.section	.AMDGPU.csdata,"",@progbits
; Kernel info:
; codeLenInByte = 1752
; TotalNumSgprs: 42
; NumVgprs: 44
; ScratchSize: 64
; MemoryBound: 0
; FloatMode: 240
; IeeeMode: 1
; LDSByteSize: 16384 bytes/workgroup (compile time only)
; SGPRBlocks: 5
; VGPRBlocks: 10
; NumSGPRsForWavesPerEU: 42
; NumVGPRsForWavesPerEU: 44
; Occupancy: 5
; WaveLimiterHint : 1
; COMPUTE_PGM_RSRC2:SCRATCH_EN: 1
; COMPUTE_PGM_RSRC2:USER_SGPR: 10
; COMPUTE_PGM_RSRC2:TRAP_HANDLER: 0
; COMPUTE_PGM_RSRC2:TGID_X_EN: 1
; COMPUTE_PGM_RSRC2:TGID_Y_EN: 0
; COMPUTE_PGM_RSRC2:TGID_Z_EN: 1
; COMPUTE_PGM_RSRC2:TIDIG_COMP_CNT: 2
	.text
	.protected	Transform_I32_S_000_16_16_VW_1 ; -- Begin function Transform_I32_S_000_16_16_VW_1
	.globl	Transform_I32_S_000_16_16_VW_1
	.p2align	8
	.type	Transform_I32_S_000_16_16_VW_1,@function
Transform_I32_S_000_16_16_VW_1:         ; @Transform_I32_S_000_16_16_VW_1
; %bb.0:
	s_mov_b64 s[26:27], s[4:5]
	s_load_dword s4, s[4:5], 0x64
	s_add_u32 flat_scratch_lo, s6, s10
	s_addc_u32 flat_scratch_hi, s7, 0
	s_add_u32 s0, s0, s10
	s_addc_u32 s1, s1, 0
	s_waitcnt lgkmcnt(0)
	s_and_b32 s4, s4, 0xffff
	s_mov_b32 s28, s9
	s_mov_b32 s29, s8
	v_mov_b32_e32 v41, v0
	s_cmpk_eq_i32 s4, 0x100
	s_mov_b64 s[4:5], -1
	s_mov_b32 s32, 0
	s_cbranch_scc1 .LBB96_2
; %bb.1:
	s_add_u32 s8, s26, 0x58
	s_addc_u32 s9, s27, 0
	s_getpc_b64 s[4:5]
	s_add_u32 s4, s4, __PRETTY_FUNCTION__._ZN10amd_detail9transformIifLb0ELb0ELb0ELj16ELj16ELj1EEEvPT_PKS1_S4_T0_PKS5_S5_S7_jjjjjjbb@rel32@lo+4
	s_addc_u32 s5, s5, __PRETTY_FUNCTION__._ZN10amd_detail9transformIifLb0ELb0ELb0ELj16ELj16ELj1EEEvPT_PKS1_S4_T0_PKS5_S5_S7_jjjjjjbb@rel32@hi+12
	s_getpc_b64 s[6:7]
	s_add_u32 s6, s6, __assert_fail@rel32@lo+4
	s_addc_u32 s7, s7, __assert_fail@rel32@hi+12
	v_mov_b32_e32 v0, s4
	v_mov_b32_e32 v1, s5
	s_swappc_b64 s[30:31], s[6:7]
	s_mov_b64 s[4:5], 0
	; divergent unreachable
.LBB96_2:
	s_andn2_b64 vcc, exec, s[4:5]
	s_cbranch_vccnz .LBB96_13
; %bb.3:
	s_load_dwordx8 s[4:11], s[26:27], 0x38
	s_waitcnt lgkmcnt(0)
	s_lshr_b32 s11, s4, 4
	s_and_b32 s12, s4, 15
	s_cmp_lg_u32 s12, 0
	s_cselect_b64 s[12:13], -1, 0
	s_cmp_lg_u64 s[12:13], 0
	s_addc_u32 s11, s11, 0
	v_cvt_f32_u32_e32 v0, s11
	s_load_dword s15, s[26:27], 0x18
	s_load_dwordx2 s[12:13], s[26:27], 0x20
	s_sub_i32 s14, 0, s11
	v_rcp_iflag_f32_e32 v0, v0
	v_mul_f32_e32 v0, 0x4f7ffffe, v0
	v_cvt_u32_f32_e32 v0, v0
	v_readfirstlane_b32 s16, v0
	s_mul_i32 s14, s14, s16
	s_mul_hi_u32 s14, s16, s14
	s_add_i32 s16, s16, s14
	s_mul_hi_u32 s14, s29, s16
	s_waitcnt lgkmcnt(0)
	s_cmp_eq_u64 s[12:13], 0
	v_mov_b32_e32 v0, s15
	s_cbranch_scc1 .LBB96_5
; %bb.4:
	v_mov_b32_e32 v0, 0
	global_load_dword v0, v0, s[12:13]
.LBB96_5:
	s_load_dwordx2 s[12:13], s[26:27], 0x30
	s_load_dword s15, s[26:27], 0x28
	s_waitcnt lgkmcnt(0)
	s_cmp_eq_u64 s[12:13], 0
	v_mov_b32_e32 v1, s15
	s_cbranch_scc1 .LBB96_7
; %bb.6:
	v_mov_b32_e32 v1, 0
	global_load_dword v1, v1, s[12:13]
.LBB96_7:
	s_mul_i32 s12, s14, s11
	s_sub_i32 s12, s29, s12
	s_add_i32 s13, s14, 1
	s_sub_i32 s15, s12, s11
	s_cmp_ge_u32 s12, s11
	s_cselect_b32 s13, s13, s14
	s_cselect_b32 s12, s15, s12
	s_add_i32 s14, s13, 1
	s_cmp_ge_u32 s12, s11
	s_cselect_b32 s12, s14, s13
	s_mul_i32 s11, s12, s11
	s_sub_i32 s11, s29, s11
	v_and_b32_e32 v2, 15, v41
	v_lshrrev_b32_e32 v3, 4, v41
	v_lshl_or_b32 v2, s11, 4, v2
	v_lshl_add_u32 v3, s12, 4, v3
	v_cmp_gt_u32_e32 vcc, s4, v2
	v_cmp_gt_u32_e64 s[4:5], s5, v3
	s_and_b64 s[4:5], vcc, s[4:5]
	s_and_saveexec_b64 s[12:13], s[4:5]
	s_cbranch_execz .LBB96_13
; %bb.8:
	s_load_dwordx4 s[12:15], s[26:27], 0x0
	s_load_dwordx2 s[4:5], s[26:27], 0x10
	s_mul_i32 s9, s9, s28
	v_mov_b32_e32 v5, 0
	v_mov_b32_e32 v4, 0
	s_waitcnt lgkmcnt(0)
	s_cmp_eq_u64 s[14:15], 0
	s_cbranch_scc1 .LBB96_10
; %bb.9:
	s_bitcmp1_b32 s10, 0
	s_cselect_b64 vcc, -1, 0
	v_cndmask_b32_e32 v4, v3, v2, vcc
	v_mul_lo_u32 v4, v4, s6
	v_cndmask_b32_e32 v6, v2, v3, vcc
	v_mov_b32_e32 v7, 0
	v_add3_u32 v6, v6, s9, v4
	v_lshlrev_b64 v[6:7], 2, v[6:7]
	v_mov_b32_e32 v4, s15
	v_add_co_u32_e32 v6, vcc, s14, v6
	v_addc_co_u32_e32 v7, vcc, v4, v7, vcc
	global_load_dword v4, v[6:7], off
	s_waitcnt vmcnt(0)
	v_cvt_f32_i32_e32 v4, v4
.LBB96_10:
	s_cmp_eq_u64 s[4:5], 0
	s_cbranch_scc1 .LBB96_12
; %bb.11:
	s_load_dword s6, s[26:27], 0x50
	v_mov_b32_e32 v6, 0
	v_mov_b32_e32 v7, s5
	s_waitcnt lgkmcnt(0)
	s_bitcmp1_b32 s6, 8
	s_cselect_b64 vcc, -1, 0
	v_cndmask_b32_e32 v5, v3, v2, vcc
	v_mul_lo_u32 v5, v5, s7
	v_cndmask_b32_e32 v8, v2, v3, vcc
	v_add3_u32 v5, v8, s9, v5
	v_lshlrev_b64 v[5:6], 2, v[5:6]
	v_add_co_u32_e32 v5, vcc, s4, v5
	v_addc_co_u32_e32 v6, vcc, v7, v6, vcc
	global_load_dword v5, v[5:6], off
	s_waitcnt vmcnt(0)
	v_cvt_f32_i32_e32 v5, v5
.LBB96_12:
	v_mul_lo_u32 v3, v3, s8
	s_waitcnt vmcnt(0)
	v_mul_f32_e32 v1, v1, v5
	v_fmac_f32_e32 v1, v0, v4
	v_cvt_i32_f32_e32 v4, v1
	v_add3_u32 v0, v2, s9, v3
	v_mov_b32_e32 v1, 0
	v_lshlrev_b64 v[0:1], 2, v[0:1]
	v_mov_b32_e32 v2, s13
	v_add_co_u32_e32 v0, vcc, s12, v0
	v_addc_co_u32_e32 v1, vcc, v2, v1, vcc
	global_store_dword v[0:1], v4, off
.LBB96_13:
	s_endpgm
	.section	.rodata,"a",@progbits
	.p2align	6, 0x0
	.amdhsa_kernel Transform_I32_S_000_16_16_VW_1
		.amdhsa_group_segment_fixed_size 0
		.amdhsa_private_segment_fixed_size 64
		.amdhsa_kernarg_size 344
		.amdhsa_user_sgpr_count 8
		.amdhsa_user_sgpr_private_segment_buffer 1
		.amdhsa_user_sgpr_dispatch_ptr 0
		.amdhsa_user_sgpr_queue_ptr 0
		.amdhsa_user_sgpr_kernarg_segment_ptr 1
		.amdhsa_user_sgpr_dispatch_id 0
		.amdhsa_user_sgpr_flat_scratch_init 1
		.amdhsa_user_sgpr_private_segment_size 0
		.amdhsa_uses_dynamic_stack 0
		.amdhsa_system_sgpr_private_segment_wavefront_offset 1
		.amdhsa_system_sgpr_workgroup_id_x 1
		.amdhsa_system_sgpr_workgroup_id_y 0
		.amdhsa_system_sgpr_workgroup_id_z 1
		.amdhsa_system_sgpr_workgroup_info 0
		.amdhsa_system_vgpr_workitem_id 0
		.amdhsa_next_free_vgpr 42
		.amdhsa_next_free_sgpr 34
		.amdhsa_reserve_vcc 1
		.amdhsa_reserve_flat_scratch 1
		.amdhsa_float_round_mode_32 0
		.amdhsa_float_round_mode_16_64 0
		.amdhsa_float_denorm_mode_32 3
		.amdhsa_float_denorm_mode_16_64 3
		.amdhsa_dx10_clamp 1
		.amdhsa_ieee_mode 1
		.amdhsa_fp16_overflow 0
		.amdhsa_exception_fp_ieee_invalid_op 0
		.amdhsa_exception_fp_denorm_src 0
		.amdhsa_exception_fp_ieee_div_zero 0
		.amdhsa_exception_fp_ieee_overflow 0
		.amdhsa_exception_fp_ieee_underflow 0
		.amdhsa_exception_fp_ieee_inexact 0
		.amdhsa_exception_int_div_zero 0
	.end_amdhsa_kernel
	.text
.Lfunc_end96:
	.size	Transform_I32_S_000_16_16_VW_1, .Lfunc_end96-Transform_I32_S_000_16_16_VW_1
                                        ; -- End function
	.set Transform_I32_S_000_16_16_VW_1.num_vgpr, max(42, .L__assert_fail.num_vgpr)
	.set Transform_I32_S_000_16_16_VW_1.num_agpr, max(0, .L__assert_fail.num_agpr)
	.set Transform_I32_S_000_16_16_VW_1.numbered_sgpr, max(33, .L__assert_fail.numbered_sgpr)
	.set Transform_I32_S_000_16_16_VW_1.num_named_barrier, max(0, .L__assert_fail.num_named_barrier)
	.set Transform_I32_S_000_16_16_VW_1.private_seg_size, 0+max(.L__assert_fail.private_seg_size)
	.set Transform_I32_S_000_16_16_VW_1.uses_vcc, or(1, .L__assert_fail.uses_vcc)
	.set Transform_I32_S_000_16_16_VW_1.uses_flat_scratch, or(1, .L__assert_fail.uses_flat_scratch)
	.set Transform_I32_S_000_16_16_VW_1.has_dyn_sized_stack, or(0, .L__assert_fail.has_dyn_sized_stack)
	.set Transform_I32_S_000_16_16_VW_1.has_recursion, or(0, .L__assert_fail.has_recursion)
	.set Transform_I32_S_000_16_16_VW_1.has_indirect_call, or(0, .L__assert_fail.has_indirect_call)
	.section	.AMDGPU.csdata,"",@progbits
; Kernel info:
; codeLenInByte = 680
; TotalNumSgprs: 40
; NumVgprs: 42
; ScratchSize: 64
; MemoryBound: 0
; FloatMode: 240
; IeeeMode: 1
; LDSByteSize: 0 bytes/workgroup (compile time only)
; SGPRBlocks: 4
; VGPRBlocks: 10
; NumSGPRsForWavesPerEU: 40
; NumVGPRsForWavesPerEU: 42
; Occupancy: 5
; WaveLimiterHint : 1
; COMPUTE_PGM_RSRC2:SCRATCH_EN: 1
; COMPUTE_PGM_RSRC2:USER_SGPR: 8
; COMPUTE_PGM_RSRC2:TRAP_HANDLER: 0
; COMPUTE_PGM_RSRC2:TGID_X_EN: 1
; COMPUTE_PGM_RSRC2:TGID_Y_EN: 0
; COMPUTE_PGM_RSRC2:TGID_Z_EN: 1
; COMPUTE_PGM_RSRC2:TIDIG_COMP_CNT: 0
	.text
	.protected	Transform_I32_S_000_16_16_VW_4 ; -- Begin function Transform_I32_S_000_16_16_VW_4
	.globl	Transform_I32_S_000_16_16_VW_4
	.p2align	8
	.type	Transform_I32_S_000_16_16_VW_4,@function
Transform_I32_S_000_16_16_VW_4:         ; @Transform_I32_S_000_16_16_VW_4
; %bb.0:
	s_mov_b64 s[26:27], s[4:5]
	s_load_dword s4, s[6:7], 0x64
	s_add_u32 flat_scratch_lo, s8, s12
	s_addc_u32 flat_scratch_hi, s9, 0
	s_add_u32 s0, s0, s12
	s_addc_u32 s1, s1, 0
	s_waitcnt lgkmcnt(0)
	s_and_b32 s4, s4, 0xffff
	s_mov_b32 s35, s11
	s_mov_b32 s34, s10
	s_mov_b64 s[28:29], s[6:7]
	v_mov_b32_e32 v41, v2
	v_mov_b32_e32 v43, v1
	;; [unrolled: 1-line block ×3, first 2 shown]
	s_cmpk_eq_i32 s4, 0x100
	s_mov_b64 s[4:5], -1
	s_mov_b32 s32, 0
	s_cbranch_scc1 .LBB97_2
; %bb.1:
	s_add_u32 s8, s28, 0x58
	s_addc_u32 s9, s29, 0
	s_getpc_b64 s[4:5]
	s_add_u32 s4, s4, __PRETTY_FUNCTION__._ZN10amd_detail9transformIifLb0ELb0ELb0ELj16ELj16ELj4EEEvPT_PKS1_S4_T0_PKS5_S5_S7_jjjjjjbb@rel32@lo+4
	s_addc_u32 s5, s5, __PRETTY_FUNCTION__._ZN10amd_detail9transformIifLb0ELb0ELb0ELj16ELj16ELj4EEEvPT_PKS1_S4_T0_PKS5_S5_S7_jjjjjjbb@rel32@hi+12
	s_getpc_b64 s[6:7]
	s_add_u32 s6, s6, __assert_fail@rel32@lo+4
	s_addc_u32 s7, s7, __assert_fail@rel32@hi+12
	v_mov_b32_e32 v0, s4
	v_mov_b32_e32 v1, s5
	s_swappc_b64 s[30:31], s[6:7]
	s_mov_b64 s[4:5], 0
	; divergent unreachable
.LBB97_2:
	s_andn2_b64 vcc, exec, s[4:5]
	s_cbranch_vccnz .LBB97_54
; %bb.3:
	s_load_dwordx8 s[12:19], s[28:29], 0x38
	s_waitcnt lgkmcnt(0)
	s_lshr_b32 s6, s12, 6
	s_and_b32 s4, s12, 63
	s_cmp_lg_u32 s4, 0
	s_cselect_b64 s[4:5], -1, 0
	s_cmp_lg_u64 s[4:5], 0
	s_addc_u32 s6, s6, 0
	v_cvt_f32_u32_e32 v0, s6
	s_load_dword s8, s[28:29], 0x18
	s_load_dwordx2 s[4:5], s[28:29], 0x20
	s_sub_i32 s7, 0, s6
	v_rcp_iflag_f32_e32 v0, v0
	s_waitcnt lgkmcnt(0)
	v_mov_b32_e32 v8, s8
	v_mul_f32_e32 v0, 0x4f7ffffe, v0
	v_cvt_u32_f32_e32 v0, v0
	v_readfirstlane_b32 s9, v0
	s_mul_i32 s7, s7, s9
	s_mul_hi_u32 s7, s9, s7
	s_add_i32 s9, s9, s7
	s_mul_hi_u32 s7, s34, s9
	s_cmp_eq_u64 s[4:5], 0
	s_cbranch_scc1 .LBB97_5
; %bb.4:
	v_mov_b32_e32 v0, 0
	global_load_dword v8, v0, s[4:5]
.LBB97_5:
	s_load_dwordx2 s[4:5], s[28:29], 0x30
	s_load_dword s8, s[28:29], 0x28
	s_waitcnt lgkmcnt(0)
	s_cmp_eq_u64 s[4:5], 0
	v_mov_b32_e32 v10, s8
	s_cbranch_scc1 .LBB97_7
; %bb.6:
	v_mov_b32_e32 v0, 0
	global_load_dword v10, v0, s[4:5]
.LBB97_7:
	s_mul_i32 s4, s7, s6
	s_sub_i32 s4, s34, s4
	s_add_i32 s5, s7, 1
	s_sub_i32 s8, s4, s6
	s_cmp_ge_u32 s4, s6
	s_cselect_b32 s5, s5, s7
	s_cselect_b32 s4, s8, s4
	s_add_i32 s7, s5, 1
	s_cmp_ge_u32 s4, s6
	s_cselect_b32 s4, s7, s5
	v_lshrrev_b32_e32 v0, 4, v42
	v_lshl_add_u32 v4, s4, 4, v0
	v_cmp_gt_u32_e32 vcc, s13, v4
	s_and_saveexec_b64 s[8:9], vcc
	s_cbranch_execz .LBB97_54
; %bb.8:
	s_mul_i32 s13, s4, s6
	v_lshlrev_b32_e32 v0, 2, v42
	s_sub_i32 s4, s34, s13
	v_and_b32_e32 v7, 60, v0
	v_lshl_or_b32 v11, s4, 6, v7
	v_add_u32_e32 v12, 4, v11
	s_load_dwordx4 s[20:23], s[28:29], 0x0
	s_load_dwordx2 s[24:25], s[28:29], 0x10
	v_sub_u32_e64 v9, v12, s12 clamp
	v_sub_u32_e32 v0, v11, v9
	v_mad_u64_u32 v[1:2], s[4:5], v4, s14, v[0:1]
	s_bitcmp1_b32 s18, 0
	s_cselect_b64 vcc, -1, 0
	s_waitcnt lgkmcnt(0)
	s_cmp_lg_u64 s[22:23], 0
	s_mul_i32 s17, s17, s35
	s_cselect_b64 s[10:11], -1, 0
	s_cmp_eq_u64 s[22:23], 0
	v_mov_b32_e32 v14, 0
	v_mov_b32_e32 v13, 0
	s_cbranch_scc1 .LBB97_10
; %bb.9:
	v_mad_u64_u32 v[2:3], s[4:5], v0, s14, v[4:5]
	v_mov_b32_e32 v3, 0
	v_mov_b32_e32 v5, s23
	v_cndmask_b32_e32 v2, v1, v2, vcc
	v_add_u32_e32 v2, s17, v2
	v_lshlrev_b64 v[2:3], 2, v[2:3]
	v_add_co_u32_e64 v2, s[4:5], s22, v2
	v_addc_co_u32_e64 v3, s[4:5], v5, v3, s[4:5]
	global_load_dword v2, v[2:3], off
	s_waitcnt vmcnt(0)
	v_cvt_f32_i32_e32 v13, v2
.LBB97_10:
	s_load_dword s6, s[28:29], 0x50
	v_mad_u64_u32 v[2:3], s[4:5], v4, s15, v[0:1]
	s_xor_b64 s[8:9], vcc, -1
	v_mul_lo_u32 v3, v0, s15
	s_waitcnt lgkmcnt(0)
	s_bitcmp1_b32 s6, 8
	s_cselect_b64 s[6:7], -1, 0
	s_cmp_lg_u64 s[24:25], 0
	s_cselect_b64 s[18:19], -1, 0
	s_cmp_eq_u64 s[24:25], 0
	s_cbranch_scc1 .LBB97_12
; %bb.11:
	v_add_u32_e32 v5, v3, v4
	v_cndmask_b32_e64 v5, v2, v5, s[6:7]
	v_add_u32_e32 v5, s17, v5
	v_mov_b32_e32 v6, 0
	v_lshlrev_b64 v[5:6], 2, v[5:6]
	v_mov_b32_e32 v14, s25
	v_add_co_u32_e32 v5, vcc, s24, v5
	v_addc_co_u32_e32 v6, vcc, v14, v6, vcc
	global_load_dword v5, v[5:6], off
	s_waitcnt vmcnt(0)
	v_cvt_f32_i32_e32 v14, v5
.LBB97_12:
	v_cndmask_b32_e64 v5, 0, 1, s[8:9]
	v_cmp_ne_u32_e64 s[4:5], 1, v5
	s_andn2_b64 vcc, exec, s[8:9]
	s_cbranch_vccnz .LBB97_14
; %bb.13:
	v_add_u32_e32 v5, 1, v1
	s_xor_b64 s[8:9], s[6:7], -1
	s_cbranch_execz .LBB97_15
	s_branch .LBB97_16
.LBB97_14:
                                        ; implicit-def: $vgpr5
	s_xor_b64 s[8:9], s[6:7], -1
.LBB97_15:
	v_mul_lo_u32 v5, s14, v0
	v_add3_u32 v5, v5, s14, v4
.LBB97_16:
	v_cndmask_b32_e64 v6, 0, 1, s[8:9]
	v_cmp_ne_u32_e64 s[6:7], 1, v6
	s_andn2_b64 vcc, exec, s[8:9]
	s_cbranch_vccnz .LBB97_18
; %bb.17:
	v_add_u32_e32 v6, 1, v2
	s_cbranch_execz .LBB97_19
	s_branch .LBB97_20
.LBB97_18:
                                        ; implicit-def: $vgpr6
.LBB97_19:
	v_add3_u32 v6, v3, s15, v4
.LBB97_20:
	v_cndmask_b32_e64 v15, 0, 1, s[10:11]
	v_mov_b32_e32 v16, 0
	v_cmp_ne_u32_e64 s[8:9], 1, v15
	s_andn2_b64 vcc, exec, s[10:11]
	v_mov_b32_e32 v15, 0
	s_cbranch_vccnz .LBB97_22
; %bb.21:
	v_add_u32_e32 v17, s17, v5
	v_mov_b32_e32 v18, 0
	v_lshlrev_b64 v[17:18], 2, v[17:18]
	v_mov_b32_e32 v5, s23
	v_add_co_u32_e32 v17, vcc, s22, v17
	v_addc_co_u32_e32 v18, vcc, v5, v18, vcc
	global_load_dword v5, v[17:18], off
	s_waitcnt vmcnt(0)
	v_cvt_f32_i32_e32 v15, v5
.LBB97_22:
	v_cndmask_b32_e64 v5, 0, 1, s[18:19]
	v_cmp_ne_u32_e64 s[10:11], 1, v5
	s_andn2_b64 vcc, exec, s[18:19]
	s_cbranch_vccnz .LBB97_24
; %bb.23:
	v_add_u32_e32 v5, s17, v6
	v_mov_b32_e32 v6, 0
	v_lshlrev_b64 v[5:6], 2, v[5:6]
	v_mov_b32_e32 v16, s25
	v_add_co_u32_e32 v5, vcc, s24, v5
	v_addc_co_u32_e32 v6, vcc, v16, v6, vcc
	global_load_dword v5, v[5:6], off
	s_waitcnt vmcnt(0)
	v_cvt_f32_i32_e32 v16, v5
.LBB97_24:
	s_and_b64 vcc, exec, s[4:5]
	s_cbranch_vccnz .LBB97_26
; %bb.25:
	v_add_u32_e32 v5, 2, v1
	s_cbranch_execz .LBB97_27
	s_branch .LBB97_28
.LBB97_26:
                                        ; implicit-def: $vgpr5
.LBB97_27:
	v_add_u32_e32 v5, 2, v0
	v_mad_u64_u32 v[5:6], s[18:19], v5, s14, v[4:5]
.LBB97_28:
	s_and_b64 vcc, exec, s[6:7]
	s_cbranch_vccnz .LBB97_30
; %bb.29:
	v_add_u32_e32 v6, 2, v2
	s_cbranch_execz .LBB97_31
	s_branch .LBB97_32
.LBB97_30:
                                        ; implicit-def: $vgpr6
.LBB97_31:
	s_lshl_b32 s18, s15, 1
	v_add3_u32 v6, v3, s18, v4
.LBB97_32:
	v_mov_b32_e32 v18, 0
	s_and_b64 vcc, exec, s[8:9]
	v_mov_b32_e32 v17, 0
	s_cbranch_vccnz .LBB97_34
; %bb.33:
	v_add_u32_e32 v19, s17, v5
	v_mov_b32_e32 v20, 0
	v_lshlrev_b64 v[19:20], 2, v[19:20]
	v_mov_b32_e32 v5, s23
	v_add_co_u32_e32 v19, vcc, s22, v19
	v_addc_co_u32_e32 v20, vcc, v5, v20, vcc
	global_load_dword v5, v[19:20], off
	s_waitcnt vmcnt(0)
	v_cvt_f32_i32_e32 v17, v5
.LBB97_34:
	s_and_b64 vcc, exec, s[10:11]
	s_cbranch_vccnz .LBB97_36
; %bb.35:
	v_add_u32_e32 v5, s17, v6
	v_mov_b32_e32 v6, 0
	v_lshlrev_b64 v[5:6], 2, v[5:6]
	v_mov_b32_e32 v18, s25
	v_add_co_u32_e32 v5, vcc, s24, v5
	v_addc_co_u32_e32 v6, vcc, v18, v6, vcc
	global_load_dword v5, v[5:6], off
	s_waitcnt vmcnt(0)
	v_cvt_f32_i32_e32 v18, v5
.LBB97_36:
	s_and_b64 vcc, exec, s[4:5]
	s_cbranch_vccnz .LBB97_38
; %bb.37:
	v_add_u32_e32 v5, 3, v1
	s_cbranch_execz .LBB97_39
	s_branch .LBB97_40
.LBB97_38:
                                        ; implicit-def: $vgpr5
.LBB97_39:
	v_add_u32_e32 v0, 3, v0
	v_mad_u64_u32 v[5:6], s[4:5], v0, s14, v[4:5]
.LBB97_40:
	s_and_b64 vcc, exec, s[6:7]
	s_cbranch_vccnz .LBB97_42
; %bb.41:
	v_add_u32_e32 v0, 3, v2
	s_cbranch_execz .LBB97_43
	s_branch .LBB97_44
.LBB97_42:
                                        ; implicit-def: $vgpr0
.LBB97_43:
	s_mul_i32 s4, s15, 3
	v_add3_u32 v0, v3, s4, v4
.LBB97_44:
	v_mov_b32_e32 v6, 0
	s_and_b64 vcc, exec, s[8:9]
	v_mov_b32_e32 v3, 0
	s_cbranch_vccnz .LBB97_46
; %bb.45:
	v_add_u32_e32 v1, s17, v5
	v_mov_b32_e32 v2, 0
	v_lshlrev_b64 v[1:2], 2, v[1:2]
	v_mov_b32_e32 v3, s23
	v_add_co_u32_e32 v1, vcc, s22, v1
	v_addc_co_u32_e32 v2, vcc, v3, v2, vcc
	global_load_dword v1, v[1:2], off
	s_waitcnt vmcnt(0)
	v_cvt_f32_i32_e32 v3, v1
.LBB97_46:
	s_and_b64 vcc, exec, s[10:11]
	s_cbranch_vccnz .LBB97_48
; %bb.47:
	v_add_u32_e32 v0, s17, v0
	v_mov_b32_e32 v1, 0
	v_lshlrev_b64 v[0:1], 2, v[0:1]
	v_mov_b32_e32 v2, s25
	v_add_co_u32_e32 v0, vcc, s24, v0
	v_addc_co_u32_e32 v1, vcc, v2, v1, vcc
	global_load_dword v0, v[0:1], off
	s_waitcnt vmcnt(0)
	v_cvt_f32_i32_e32 v6, v0
.LBB97_48:
	s_load_dwordx2 s[4:5], s[26:27], 0x4
	s_waitcnt vmcnt(0)
	v_mul_f32_e32 v0, v10, v14
	v_mul_f32_e32 v1, v10, v16
	;; [unrolled: 1-line block ×4, first 2 shown]
	s_waitcnt lgkmcnt(0)
	s_lshr_b32 s4, s4, 16
	s_mul_i32 s4, s4, s5
	v_mul_lo_u32 v5, s4, v42
	v_fmac_f32_e32 v0, v8, v13
	v_fmac_f32_e32 v1, v8, v15
	v_fmac_f32_e32 v2, v8, v17
	v_fmac_f32_e32 v6, v8, v3
	v_cvt_i32_f32_e32 v0, v0
	v_cvt_i32_f32_e32 v1, v1
	;; [unrolled: 1-line block ×4, first 2 shown]
	v_mul_lo_u32 v4, v4, s16
	v_mad_u32_u24 v6, v43, s5, v5
	v_add_lshl_u32 v6, v6, v41, 4
	v_cmp_ge_u32_e32 vcc, s12, v12
	ds_write_b128 v6, v[0:3]
	s_and_saveexec_b64 s[6:7], vcc
	s_xor_b64 s[6:7], exec, s[6:7]
	s_cbranch_execz .LBB97_50
; %bb.49:
	v_add_u32_e32 v5, s17, v11
	v_sub_u32_e32 v5, v5, v9
	v_add_u32_e32 v4, v5, v4
	v_mov_b32_e32 v5, 0
	v_lshlrev_b64 v[6:7], 2, v[4:5]
	v_mov_b32_e32 v8, s21
	v_add_co_u32_e32 v6, vcc, s20, v6
	v_addc_co_u32_e32 v7, vcc, v8, v7, vcc
	global_store_dword v[6:7], v0, off
	v_add_u32_e32 v6, 1, v4
	v_mov_b32_e32 v7, v5
	v_lshlrev_b64 v[6:7], 2, v[6:7]
	v_mov_b32_e32 v0, s21
	v_add_co_u32_e32 v6, vcc, s20, v6
	v_addc_co_u32_e32 v7, vcc, v0, v7, vcc
	global_store_dword v[6:7], v1, off
	v_add_u32_e32 v0, 2, v4
	v_mov_b32_e32 v1, v5
	v_lshlrev_b64 v[0:1], 2, v[0:1]
	v_mov_b32_e32 v6, s21
	v_add_co_u32_e32 v0, vcc, s20, v0
	v_addc_co_u32_e32 v1, vcc, v6, v1, vcc
	v_add_u32_e32 v4, 3, v4
	global_store_dword v[0:1], v2, off
	v_lshlrev_b64 v[0:1], 2, v[4:5]
	v_mov_b32_e32 v2, s21
	v_add_co_u32_e32 v0, vcc, s20, v0
	v_addc_co_u32_e32 v1, vcc, v2, v1, vcc
	global_store_dword v[0:1], v3, off
                                        ; implicit-def: $vgpr9
                                        ; implicit-def: $vgpr43
                                        ; implicit-def: $vgpr7
                                        ; implicit-def: $vgpr4
                                        ; implicit-def: $vgpr41
                                        ; implicit-def: $vgpr5
                                        ; implicit-def: $vgpr42
.LBB97_50:
	s_andn2_saveexec_b64 s[6:7], s[6:7]
	s_cbranch_execz .LBB97_54
; %bb.51:
	v_cmp_gt_u32_e32 vcc, 4, v9
	s_and_b64 exec, exec, vcc
	s_cbranch_execz .LBB97_54
; %bb.52:
	v_mul_u32_u24_e32 v1, s5, v43
	v_lshl_or_b32 v0, s34, 6, v7
	s_lshl_b32 s4, s13, 6
	v_subrev_u32_e32 v2, s4, v0
	v_add3_u32 v0, s17, v4, v0
	v_add3_u32 v1, v1, v41, v5
	v_and_b32_e32 v4, 15, v42
	v_add_u32_e32 v3, 4, v2
	v_add_lshl_u32 v1, v1, v4, 4
	v_min_u32_e32 v3, s12, v3
	v_subrev_u32_e32 v0, s4, v0
	v_lshl_add_u32 v1, s34, 8, v1
	s_lshl_b32 s4, s13, 8
	v_sub_u32_e32 v2, v2, v3
	v_subrev_u32_e32 v1, s4, v1
	v_lshlrev_b32_e32 v3, 2, v3
	v_sub_u32_e32 v1, v1, v3
	v_add_u32_e32 v2, 3, v2
	v_add_u32_e32 v3, 16, v1
	s_mov_b64 s[6:7], 0
	v_mov_b32_e32 v1, 0
	v_mov_b32_e32 v4, s21
.LBB97_53:                              ; =>This Inner Loop Header: Depth=1
	ds_read_b32 v7, v3
	v_lshlrev_b64 v[5:6], 2, v[0:1]
	v_add_u32_e32 v2, 1, v2
	v_cmp_lt_u32_e32 vcc, 2, v2
	v_add_co_u32_e64 v5, s[4:5], s20, v5
	v_add_u32_e32 v0, 1, v0
	v_add_u32_e32 v3, 4, v3
	v_addc_co_u32_e64 v6, s[4:5], v4, v6, s[4:5]
	s_or_b64 s[6:7], vcc, s[6:7]
	s_waitcnt lgkmcnt(0)
	global_store_dword v[5:6], v7, off
	s_andn2_b64 exec, exec, s[6:7]
	s_cbranch_execnz .LBB97_53
.LBB97_54:
	s_endpgm
	.section	.rodata,"a",@progbits
	.p2align	6, 0x0
	.amdhsa_kernel Transform_I32_S_000_16_16_VW_4
		.amdhsa_group_segment_fixed_size 16384
		.amdhsa_private_segment_fixed_size 64
		.amdhsa_kernarg_size 344
		.amdhsa_user_sgpr_count 10
		.amdhsa_user_sgpr_private_segment_buffer 1
		.amdhsa_user_sgpr_dispatch_ptr 1
		.amdhsa_user_sgpr_queue_ptr 0
		.amdhsa_user_sgpr_kernarg_segment_ptr 1
		.amdhsa_user_sgpr_dispatch_id 0
		.amdhsa_user_sgpr_flat_scratch_init 1
		.amdhsa_user_sgpr_private_segment_size 0
		.amdhsa_uses_dynamic_stack 0
		.amdhsa_system_sgpr_private_segment_wavefront_offset 1
		.amdhsa_system_sgpr_workgroup_id_x 1
		.amdhsa_system_sgpr_workgroup_id_y 0
		.amdhsa_system_sgpr_workgroup_id_z 1
		.amdhsa_system_sgpr_workgroup_info 0
		.amdhsa_system_vgpr_workitem_id 2
		.amdhsa_next_free_vgpr 44
		.amdhsa_next_free_sgpr 36
		.amdhsa_reserve_vcc 1
		.amdhsa_reserve_flat_scratch 1
		.amdhsa_float_round_mode_32 0
		.amdhsa_float_round_mode_16_64 0
		.amdhsa_float_denorm_mode_32 3
		.amdhsa_float_denorm_mode_16_64 3
		.amdhsa_dx10_clamp 1
		.amdhsa_ieee_mode 1
		.amdhsa_fp16_overflow 0
		.amdhsa_exception_fp_ieee_invalid_op 0
		.amdhsa_exception_fp_denorm_src 0
		.amdhsa_exception_fp_ieee_div_zero 0
		.amdhsa_exception_fp_ieee_overflow 0
		.amdhsa_exception_fp_ieee_underflow 0
		.amdhsa_exception_fp_ieee_inexact 0
		.amdhsa_exception_int_div_zero 0
	.end_amdhsa_kernel
	.text
.Lfunc_end97:
	.size	Transform_I32_S_000_16_16_VW_4, .Lfunc_end97-Transform_I32_S_000_16_16_VW_4
                                        ; -- End function
	.set Transform_I32_S_000_16_16_VW_4.num_vgpr, max(44, .L__assert_fail.num_vgpr)
	.set Transform_I32_S_000_16_16_VW_4.num_agpr, max(0, .L__assert_fail.num_agpr)
	.set Transform_I32_S_000_16_16_VW_4.numbered_sgpr, max(36, .L__assert_fail.numbered_sgpr)
	.set Transform_I32_S_000_16_16_VW_4.num_named_barrier, max(0, .L__assert_fail.num_named_barrier)
	.set Transform_I32_S_000_16_16_VW_4.private_seg_size, 0+max(.L__assert_fail.private_seg_size)
	.set Transform_I32_S_000_16_16_VW_4.uses_vcc, or(1, .L__assert_fail.uses_vcc)
	.set Transform_I32_S_000_16_16_VW_4.uses_flat_scratch, or(1, .L__assert_fail.uses_flat_scratch)
	.set Transform_I32_S_000_16_16_VW_4.has_dyn_sized_stack, or(0, .L__assert_fail.has_dyn_sized_stack)
	.set Transform_I32_S_000_16_16_VW_4.has_recursion, or(0, .L__assert_fail.has_recursion)
	.set Transform_I32_S_000_16_16_VW_4.has_indirect_call, or(0, .L__assert_fail.has_indirect_call)
	.section	.AMDGPU.csdata,"",@progbits
; Kernel info:
; codeLenInByte = 1748
; TotalNumSgprs: 42
; NumVgprs: 44
; ScratchSize: 64
; MemoryBound: 0
; FloatMode: 240
; IeeeMode: 1
; LDSByteSize: 16384 bytes/workgroup (compile time only)
; SGPRBlocks: 5
; VGPRBlocks: 10
; NumSGPRsForWavesPerEU: 42
; NumVGPRsForWavesPerEU: 44
; Occupancy: 5
; WaveLimiterHint : 1
; COMPUTE_PGM_RSRC2:SCRATCH_EN: 1
; COMPUTE_PGM_RSRC2:USER_SGPR: 10
; COMPUTE_PGM_RSRC2:TRAP_HANDLER: 0
; COMPUTE_PGM_RSRC2:TGID_X_EN: 1
; COMPUTE_PGM_RSRC2:TGID_Y_EN: 0
; COMPUTE_PGM_RSRC2:TGID_Z_EN: 1
; COMPUTE_PGM_RSRC2:TIDIG_COMP_CNT: 2
	.section	.AMDGPU.gpr_maximums,"",@progbits
	.set amdgpu.max_num_vgpr, 41
	.set amdgpu.max_num_agpr, 0
	.set amdgpu.max_num_sgpr, 34
	.section	.AMDGPU.csdata,"",@progbits
	.type	__const.__assert_fail.fmt,@object ; @__const.__assert_fail.fmt
	.section	.rodata.str1.16,"aMS",@progbits,1
	.p2align	4, 0x0
__const.__assert_fail.fmt:
	.asciz	"%s:%u: %s: Device-side assertion `%s' failed.\n"
	.size	__const.__assert_fail.fmt, 47

	.type	.str,@object                    ; @.str
	.section	.rodata.str1.1,"aMS",@progbits,1
.str:
	.asciz	"TileM * TileN == numThreadsPerBlock * VectorWidth"
	.size	.str, 50

	.type	.str.1,@object                  ; @.str.1
.str.1:
	.asciz	"/root/src/amdgpu-assembly/repos/ROCm__hipBLASLt/library/src/amd_detail/rocblaslt/src/kernels/matrix_transform.cpp"
	.size	.str.1, 114

	.type	__PRETTY_FUNCTION__._ZN10amd_detail9transformIffLb1ELb1ELb1ELj16ELj16ELj1EEEvPT_PKS1_S4_T0_PKS5_S5_S7_jjjjjjbb,@object ; @__PRETTY_FUNCTION__._ZN10amd_detail9transformIffLb1ELb1ELb1ELj16ELj16ELj1EEEvPT_PKS1_S4_T0_PKS5_S5_S7_jjjjjjbb
__PRETTY_FUNCTION__._ZN10amd_detail9transformIffLb1ELb1ELb1ELj16ELj16ELj1EEEvPT_PKS1_S4_T0_PKS5_S5_S7_jjjjjjbb:
	.asciz	"void amd_detail::transform(DType *, const DType *, const DType *, ScaleType, const ScaleType *, ScaleType, const ScaleType *, uint32_t, uint32_t, uint32_t, uint32_t, uint32_t, uint32_t, bool, bool) [DType = float, ScaleType = float, RowMajA = true, RowMajB = true, RowMajC = true, NumThreadsM = 16U, NumThreadsN = 16U, VectorWidth = 1U]"
	.size	__PRETTY_FUNCTION__._ZN10amd_detail9transformIffLb1ELb1ELb1ELj16ELj16ELj1EEEvPT_PKS1_S4_T0_PKS5_S5_S7_jjjjjjbb, 337

	.type	__PRETTY_FUNCTION__._ZN10amd_detail9transformIffLb1ELb1ELb1ELj16ELj16ELj4EEEvPT_PKS1_S4_T0_PKS5_S5_S7_jjjjjjbb,@object ; @__PRETTY_FUNCTION__._ZN10amd_detail9transformIffLb1ELb1ELb1ELj16ELj16ELj4EEEvPT_PKS1_S4_T0_PKS5_S5_S7_jjjjjjbb
__PRETTY_FUNCTION__._ZN10amd_detail9transformIffLb1ELb1ELb1ELj16ELj16ELj4EEEvPT_PKS1_S4_T0_PKS5_S5_S7_jjjjjjbb:
	.asciz	"void amd_detail::transform(DType *, const DType *, const DType *, ScaleType, const ScaleType *, ScaleType, const ScaleType *, uint32_t, uint32_t, uint32_t, uint32_t, uint32_t, uint32_t, bool, bool) [DType = float, ScaleType = float, RowMajA = true, RowMajB = true, RowMajC = true, NumThreadsM = 16U, NumThreadsN = 16U, VectorWidth = 4U]"
	.size	__PRETTY_FUNCTION__._ZN10amd_detail9transformIffLb1ELb1ELb1ELj16ELj16ELj4EEEvPT_PKS1_S4_T0_PKS5_S5_S7_jjjjjjbb, 337

	.type	__PRETTY_FUNCTION__._ZN10amd_detail9transformIffLb1ELb1ELb0ELj16ELj16ELj1EEEvPT_PKS1_S4_T0_PKS5_S5_S7_jjjjjjbb,@object ; @__PRETTY_FUNCTION__._ZN10amd_detail9transformIffLb1ELb1ELb0ELj16ELj16ELj1EEEvPT_PKS1_S4_T0_PKS5_S5_S7_jjjjjjbb
__PRETTY_FUNCTION__._ZN10amd_detail9transformIffLb1ELb1ELb0ELj16ELj16ELj1EEEvPT_PKS1_S4_T0_PKS5_S5_S7_jjjjjjbb:
	.asciz	"void amd_detail::transform(DType *, const DType *, const DType *, ScaleType, const ScaleType *, ScaleType, const ScaleType *, uint32_t, uint32_t, uint32_t, uint32_t, uint32_t, uint32_t, bool, bool) [DType = float, ScaleType = float, RowMajA = true, RowMajB = true, RowMajC = false, NumThreadsM = 16U, NumThreadsN = 16U, VectorWidth = 1U]"
	.size	__PRETTY_FUNCTION__._ZN10amd_detail9transformIffLb1ELb1ELb0ELj16ELj16ELj1EEEvPT_PKS1_S4_T0_PKS5_S5_S7_jjjjjjbb, 338

	.type	__PRETTY_FUNCTION__._ZN10amd_detail9transformIffLb1ELb1ELb0ELj16ELj16ELj4EEEvPT_PKS1_S4_T0_PKS5_S5_S7_jjjjjjbb,@object ; @__PRETTY_FUNCTION__._ZN10amd_detail9transformIffLb1ELb1ELb0ELj16ELj16ELj4EEEvPT_PKS1_S4_T0_PKS5_S5_S7_jjjjjjbb
__PRETTY_FUNCTION__._ZN10amd_detail9transformIffLb1ELb1ELb0ELj16ELj16ELj4EEEvPT_PKS1_S4_T0_PKS5_S5_S7_jjjjjjbb:
	.asciz	"void amd_detail::transform(DType *, const DType *, const DType *, ScaleType, const ScaleType *, ScaleType, const ScaleType *, uint32_t, uint32_t, uint32_t, uint32_t, uint32_t, uint32_t, bool, bool) [DType = float, ScaleType = float, RowMajA = true, RowMajB = true, RowMajC = false, NumThreadsM = 16U, NumThreadsN = 16U, VectorWidth = 4U]"
	.size	__PRETTY_FUNCTION__._ZN10amd_detail9transformIffLb1ELb1ELb0ELj16ELj16ELj4EEEvPT_PKS1_S4_T0_PKS5_S5_S7_jjjjjjbb, 338

	.type	__PRETTY_FUNCTION__._ZN10amd_detail9transformIffLb1ELb0ELb1ELj16ELj16ELj1EEEvPT_PKS1_S4_T0_PKS5_S5_S7_jjjjjjbb,@object ; @__PRETTY_FUNCTION__._ZN10amd_detail9transformIffLb1ELb0ELb1ELj16ELj16ELj1EEEvPT_PKS1_S4_T0_PKS5_S5_S7_jjjjjjbb
__PRETTY_FUNCTION__._ZN10amd_detail9transformIffLb1ELb0ELb1ELj16ELj16ELj1EEEvPT_PKS1_S4_T0_PKS5_S5_S7_jjjjjjbb:
	.asciz	"void amd_detail::transform(DType *, const DType *, const DType *, ScaleType, const ScaleType *, ScaleType, const ScaleType *, uint32_t, uint32_t, uint32_t, uint32_t, uint32_t, uint32_t, bool, bool) [DType = float, ScaleType = float, RowMajA = true, RowMajB = false, RowMajC = true, NumThreadsM = 16U, NumThreadsN = 16U, VectorWidth = 1U]"
	.size	__PRETTY_FUNCTION__._ZN10amd_detail9transformIffLb1ELb0ELb1ELj16ELj16ELj1EEEvPT_PKS1_S4_T0_PKS5_S5_S7_jjjjjjbb, 338

	.type	__PRETTY_FUNCTION__._ZN10amd_detail9transformIffLb1ELb0ELb1ELj16ELj16ELj4EEEvPT_PKS1_S4_T0_PKS5_S5_S7_jjjjjjbb,@object ; @__PRETTY_FUNCTION__._ZN10amd_detail9transformIffLb1ELb0ELb1ELj16ELj16ELj4EEEvPT_PKS1_S4_T0_PKS5_S5_S7_jjjjjjbb
__PRETTY_FUNCTION__._ZN10amd_detail9transformIffLb1ELb0ELb1ELj16ELj16ELj4EEEvPT_PKS1_S4_T0_PKS5_S5_S7_jjjjjjbb:
	.asciz	"void amd_detail::transform(DType *, const DType *, const DType *, ScaleType, const ScaleType *, ScaleType, const ScaleType *, uint32_t, uint32_t, uint32_t, uint32_t, uint32_t, uint32_t, bool, bool) [DType = float, ScaleType = float, RowMajA = true, RowMajB = false, RowMajC = true, NumThreadsM = 16U, NumThreadsN = 16U, VectorWidth = 4U]"
	.size	__PRETTY_FUNCTION__._ZN10amd_detail9transformIffLb1ELb0ELb1ELj16ELj16ELj4EEEvPT_PKS1_S4_T0_PKS5_S5_S7_jjjjjjbb, 338

	.type	__PRETTY_FUNCTION__._ZN10amd_detail9transformIffLb1ELb0ELb0ELj16ELj16ELj1EEEvPT_PKS1_S4_T0_PKS5_S5_S7_jjjjjjbb,@object ; @__PRETTY_FUNCTION__._ZN10amd_detail9transformIffLb1ELb0ELb0ELj16ELj16ELj1EEEvPT_PKS1_S4_T0_PKS5_S5_S7_jjjjjjbb
__PRETTY_FUNCTION__._ZN10amd_detail9transformIffLb1ELb0ELb0ELj16ELj16ELj1EEEvPT_PKS1_S4_T0_PKS5_S5_S7_jjjjjjbb:
	.asciz	"void amd_detail::transform(DType *, const DType *, const DType *, ScaleType, const ScaleType *, ScaleType, const ScaleType *, uint32_t, uint32_t, uint32_t, uint32_t, uint32_t, uint32_t, bool, bool) [DType = float, ScaleType = float, RowMajA = true, RowMajB = false, RowMajC = false, NumThreadsM = 16U, NumThreadsN = 16U, VectorWidth = 1U]"
	.size	__PRETTY_FUNCTION__._ZN10amd_detail9transformIffLb1ELb0ELb0ELj16ELj16ELj1EEEvPT_PKS1_S4_T0_PKS5_S5_S7_jjjjjjbb, 339

	.type	__PRETTY_FUNCTION__._ZN10amd_detail9transformIffLb1ELb0ELb0ELj16ELj16ELj4EEEvPT_PKS1_S4_T0_PKS5_S5_S7_jjjjjjbb,@object ; @__PRETTY_FUNCTION__._ZN10amd_detail9transformIffLb1ELb0ELb0ELj16ELj16ELj4EEEvPT_PKS1_S4_T0_PKS5_S5_S7_jjjjjjbb
__PRETTY_FUNCTION__._ZN10amd_detail9transformIffLb1ELb0ELb0ELj16ELj16ELj4EEEvPT_PKS1_S4_T0_PKS5_S5_S7_jjjjjjbb:
	.asciz	"void amd_detail::transform(DType *, const DType *, const DType *, ScaleType, const ScaleType *, ScaleType, const ScaleType *, uint32_t, uint32_t, uint32_t, uint32_t, uint32_t, uint32_t, bool, bool) [DType = float, ScaleType = float, RowMajA = true, RowMajB = false, RowMajC = false, NumThreadsM = 16U, NumThreadsN = 16U, VectorWidth = 4U]"
	.size	__PRETTY_FUNCTION__._ZN10amd_detail9transformIffLb1ELb0ELb0ELj16ELj16ELj4EEEvPT_PKS1_S4_T0_PKS5_S5_S7_jjjjjjbb, 339

	.type	__PRETTY_FUNCTION__._ZN10amd_detail9transformIffLb0ELb1ELb1ELj16ELj16ELj1EEEvPT_PKS1_S4_T0_PKS5_S5_S7_jjjjjjbb,@object ; @__PRETTY_FUNCTION__._ZN10amd_detail9transformIffLb0ELb1ELb1ELj16ELj16ELj1EEEvPT_PKS1_S4_T0_PKS5_S5_S7_jjjjjjbb
__PRETTY_FUNCTION__._ZN10amd_detail9transformIffLb0ELb1ELb1ELj16ELj16ELj1EEEvPT_PKS1_S4_T0_PKS5_S5_S7_jjjjjjbb:
	.asciz	"void amd_detail::transform(DType *, const DType *, const DType *, ScaleType, const ScaleType *, ScaleType, const ScaleType *, uint32_t, uint32_t, uint32_t, uint32_t, uint32_t, uint32_t, bool, bool) [DType = float, ScaleType = float, RowMajA = false, RowMajB = true, RowMajC = true, NumThreadsM = 16U, NumThreadsN = 16U, VectorWidth = 1U]"
	.size	__PRETTY_FUNCTION__._ZN10amd_detail9transformIffLb0ELb1ELb1ELj16ELj16ELj1EEEvPT_PKS1_S4_T0_PKS5_S5_S7_jjjjjjbb, 338

	.type	__PRETTY_FUNCTION__._ZN10amd_detail9transformIffLb0ELb1ELb1ELj16ELj16ELj4EEEvPT_PKS1_S4_T0_PKS5_S5_S7_jjjjjjbb,@object ; @__PRETTY_FUNCTION__._ZN10amd_detail9transformIffLb0ELb1ELb1ELj16ELj16ELj4EEEvPT_PKS1_S4_T0_PKS5_S5_S7_jjjjjjbb
__PRETTY_FUNCTION__._ZN10amd_detail9transformIffLb0ELb1ELb1ELj16ELj16ELj4EEEvPT_PKS1_S4_T0_PKS5_S5_S7_jjjjjjbb:
	.asciz	"void amd_detail::transform(DType *, const DType *, const DType *, ScaleType, const ScaleType *, ScaleType, const ScaleType *, uint32_t, uint32_t, uint32_t, uint32_t, uint32_t, uint32_t, bool, bool) [DType = float, ScaleType = float, RowMajA = false, RowMajB = true, RowMajC = true, NumThreadsM = 16U, NumThreadsN = 16U, VectorWidth = 4U]"
	.size	__PRETTY_FUNCTION__._ZN10amd_detail9transformIffLb0ELb1ELb1ELj16ELj16ELj4EEEvPT_PKS1_S4_T0_PKS5_S5_S7_jjjjjjbb, 338

	.type	__PRETTY_FUNCTION__._ZN10amd_detail9transformIffLb0ELb1ELb0ELj16ELj16ELj1EEEvPT_PKS1_S4_T0_PKS5_S5_S7_jjjjjjbb,@object ; @__PRETTY_FUNCTION__._ZN10amd_detail9transformIffLb0ELb1ELb0ELj16ELj16ELj1EEEvPT_PKS1_S4_T0_PKS5_S5_S7_jjjjjjbb
__PRETTY_FUNCTION__._ZN10amd_detail9transformIffLb0ELb1ELb0ELj16ELj16ELj1EEEvPT_PKS1_S4_T0_PKS5_S5_S7_jjjjjjbb:
	.asciz	"void amd_detail::transform(DType *, const DType *, const DType *, ScaleType, const ScaleType *, ScaleType, const ScaleType *, uint32_t, uint32_t, uint32_t, uint32_t, uint32_t, uint32_t, bool, bool) [DType = float, ScaleType = float, RowMajA = false, RowMajB = true, RowMajC = false, NumThreadsM = 16U, NumThreadsN = 16U, VectorWidth = 1U]"
	.size	__PRETTY_FUNCTION__._ZN10amd_detail9transformIffLb0ELb1ELb0ELj16ELj16ELj1EEEvPT_PKS1_S4_T0_PKS5_S5_S7_jjjjjjbb, 339

	.type	__PRETTY_FUNCTION__._ZN10amd_detail9transformIffLb0ELb1ELb0ELj16ELj16ELj4EEEvPT_PKS1_S4_T0_PKS5_S5_S7_jjjjjjbb,@object ; @__PRETTY_FUNCTION__._ZN10amd_detail9transformIffLb0ELb1ELb0ELj16ELj16ELj4EEEvPT_PKS1_S4_T0_PKS5_S5_S7_jjjjjjbb
__PRETTY_FUNCTION__._ZN10amd_detail9transformIffLb0ELb1ELb0ELj16ELj16ELj4EEEvPT_PKS1_S4_T0_PKS5_S5_S7_jjjjjjbb:
	.asciz	"void amd_detail::transform(DType *, const DType *, const DType *, ScaleType, const ScaleType *, ScaleType, const ScaleType *, uint32_t, uint32_t, uint32_t, uint32_t, uint32_t, uint32_t, bool, bool) [DType = float, ScaleType = float, RowMajA = false, RowMajB = true, RowMajC = false, NumThreadsM = 16U, NumThreadsN = 16U, VectorWidth = 4U]"
	.size	__PRETTY_FUNCTION__._ZN10amd_detail9transformIffLb0ELb1ELb0ELj16ELj16ELj4EEEvPT_PKS1_S4_T0_PKS5_S5_S7_jjjjjjbb, 339

	.type	__PRETTY_FUNCTION__._ZN10amd_detail9transformIffLb0ELb0ELb1ELj16ELj16ELj1EEEvPT_PKS1_S4_T0_PKS5_S5_S7_jjjjjjbb,@object ; @__PRETTY_FUNCTION__._ZN10amd_detail9transformIffLb0ELb0ELb1ELj16ELj16ELj1EEEvPT_PKS1_S4_T0_PKS5_S5_S7_jjjjjjbb
__PRETTY_FUNCTION__._ZN10amd_detail9transformIffLb0ELb0ELb1ELj16ELj16ELj1EEEvPT_PKS1_S4_T0_PKS5_S5_S7_jjjjjjbb:
	.asciz	"void amd_detail::transform(DType *, const DType *, const DType *, ScaleType, const ScaleType *, ScaleType, const ScaleType *, uint32_t, uint32_t, uint32_t, uint32_t, uint32_t, uint32_t, bool, bool) [DType = float, ScaleType = float, RowMajA = false, RowMajB = false, RowMajC = true, NumThreadsM = 16U, NumThreadsN = 16U, VectorWidth = 1U]"
	.size	__PRETTY_FUNCTION__._ZN10amd_detail9transformIffLb0ELb0ELb1ELj16ELj16ELj1EEEvPT_PKS1_S4_T0_PKS5_S5_S7_jjjjjjbb, 339

	.type	__PRETTY_FUNCTION__._ZN10amd_detail9transformIffLb0ELb0ELb1ELj16ELj16ELj4EEEvPT_PKS1_S4_T0_PKS5_S5_S7_jjjjjjbb,@object ; @__PRETTY_FUNCTION__._ZN10amd_detail9transformIffLb0ELb0ELb1ELj16ELj16ELj4EEEvPT_PKS1_S4_T0_PKS5_S5_S7_jjjjjjbb
__PRETTY_FUNCTION__._ZN10amd_detail9transformIffLb0ELb0ELb1ELj16ELj16ELj4EEEvPT_PKS1_S4_T0_PKS5_S5_S7_jjjjjjbb:
	.asciz	"void amd_detail::transform(DType *, const DType *, const DType *, ScaleType, const ScaleType *, ScaleType, const ScaleType *, uint32_t, uint32_t, uint32_t, uint32_t, uint32_t, uint32_t, bool, bool) [DType = float, ScaleType = float, RowMajA = false, RowMajB = false, RowMajC = true, NumThreadsM = 16U, NumThreadsN = 16U, VectorWidth = 4U]"
	.size	__PRETTY_FUNCTION__._ZN10amd_detail9transformIffLb0ELb0ELb1ELj16ELj16ELj4EEEvPT_PKS1_S4_T0_PKS5_S5_S7_jjjjjjbb, 339

	.type	__PRETTY_FUNCTION__._ZN10amd_detail9transformIffLb0ELb0ELb0ELj16ELj16ELj1EEEvPT_PKS1_S4_T0_PKS5_S5_S7_jjjjjjbb,@object ; @__PRETTY_FUNCTION__._ZN10amd_detail9transformIffLb0ELb0ELb0ELj16ELj16ELj1EEEvPT_PKS1_S4_T0_PKS5_S5_S7_jjjjjjbb
__PRETTY_FUNCTION__._ZN10amd_detail9transformIffLb0ELb0ELb0ELj16ELj16ELj1EEEvPT_PKS1_S4_T0_PKS5_S5_S7_jjjjjjbb:
	.asciz	"void amd_detail::transform(DType *, const DType *, const DType *, ScaleType, const ScaleType *, ScaleType, const ScaleType *, uint32_t, uint32_t, uint32_t, uint32_t, uint32_t, uint32_t, bool, bool) [DType = float, ScaleType = float, RowMajA = false, RowMajB = false, RowMajC = false, NumThreadsM = 16U, NumThreadsN = 16U, VectorWidth = 1U]"
	.size	__PRETTY_FUNCTION__._ZN10amd_detail9transformIffLb0ELb0ELb0ELj16ELj16ELj1EEEvPT_PKS1_S4_T0_PKS5_S5_S7_jjjjjjbb, 340

	.type	__PRETTY_FUNCTION__._ZN10amd_detail9transformIffLb0ELb0ELb0ELj16ELj16ELj4EEEvPT_PKS1_S4_T0_PKS5_S5_S7_jjjjjjbb,@object ; @__PRETTY_FUNCTION__._ZN10amd_detail9transformIffLb0ELb0ELb0ELj16ELj16ELj4EEEvPT_PKS1_S4_T0_PKS5_S5_S7_jjjjjjbb
__PRETTY_FUNCTION__._ZN10amd_detail9transformIffLb0ELb0ELb0ELj16ELj16ELj4EEEvPT_PKS1_S4_T0_PKS5_S5_S7_jjjjjjbb:
	.asciz	"void amd_detail::transform(DType *, const DType *, const DType *, ScaleType, const ScaleType *, ScaleType, const ScaleType *, uint32_t, uint32_t, uint32_t, uint32_t, uint32_t, uint32_t, bool, bool) [DType = float, ScaleType = float, RowMajA = false, RowMajB = false, RowMajC = false, NumThreadsM = 16U, NumThreadsN = 16U, VectorWidth = 4U]"
	.size	__PRETTY_FUNCTION__._ZN10amd_detail9transformIffLb0ELb0ELb0ELj16ELj16ELj4EEEvPT_PKS1_S4_T0_PKS5_S5_S7_jjjjjjbb, 340

	.type	__PRETTY_FUNCTION__._ZN10amd_detail9transformIDF16_DF16_Lb1ELb1ELb1ELj16ELj16ELj1EEEvPT_PKS1_S4_T0_PKS5_S5_S7_jjjjjjbb,@object ; @__PRETTY_FUNCTION__._ZN10amd_detail9transformIDF16_DF16_Lb1ELb1ELb1ELj16ELj16ELj1EEEvPT_PKS1_S4_T0_PKS5_S5_S7_jjjjjjbb
__PRETTY_FUNCTION__._ZN10amd_detail9transformIDF16_DF16_Lb1ELb1ELb1ELj16ELj16ELj1EEEvPT_PKS1_S4_T0_PKS5_S5_S7_jjjjjjbb:
	.asciz	"void amd_detail::transform(DType *, const DType *, const DType *, ScaleType, const ScaleType *, ScaleType, const ScaleType *, uint32_t, uint32_t, uint32_t, uint32_t, uint32_t, uint32_t, bool, bool) [DType = _Float16, ScaleType = _Float16, RowMajA = true, RowMajB = true, RowMajC = true, NumThreadsM = 16U, NumThreadsN = 16U, VectorWidth = 1U]"
	.size	__PRETTY_FUNCTION__._ZN10amd_detail9transformIDF16_DF16_Lb1ELb1ELb1ELj16ELj16ELj1EEEvPT_PKS1_S4_T0_PKS5_S5_S7_jjjjjjbb, 343

	.type	__PRETTY_FUNCTION__._ZN10amd_detail9transformIDF16_DF16_Lb1ELb1ELb1ELj16ELj16ELj4EEEvPT_PKS1_S4_T0_PKS5_S5_S7_jjjjjjbb,@object ; @__PRETTY_FUNCTION__._ZN10amd_detail9transformIDF16_DF16_Lb1ELb1ELb1ELj16ELj16ELj4EEEvPT_PKS1_S4_T0_PKS5_S5_S7_jjjjjjbb
__PRETTY_FUNCTION__._ZN10amd_detail9transformIDF16_DF16_Lb1ELb1ELb1ELj16ELj16ELj4EEEvPT_PKS1_S4_T0_PKS5_S5_S7_jjjjjjbb:
	.asciz	"void amd_detail::transform(DType *, const DType *, const DType *, ScaleType, const ScaleType *, ScaleType, const ScaleType *, uint32_t, uint32_t, uint32_t, uint32_t, uint32_t, uint32_t, bool, bool) [DType = _Float16, ScaleType = _Float16, RowMajA = true, RowMajB = true, RowMajC = true, NumThreadsM = 16U, NumThreadsN = 16U, VectorWidth = 4U]"
	.size	__PRETTY_FUNCTION__._ZN10amd_detail9transformIDF16_DF16_Lb1ELb1ELb1ELj16ELj16ELj4EEEvPT_PKS1_S4_T0_PKS5_S5_S7_jjjjjjbb, 343

	.type	__PRETTY_FUNCTION__._ZN10amd_detail9transformIDF16_DF16_Lb1ELb1ELb0ELj16ELj16ELj1EEEvPT_PKS1_S4_T0_PKS5_S5_S7_jjjjjjbb,@object ; @__PRETTY_FUNCTION__._ZN10amd_detail9transformIDF16_DF16_Lb1ELb1ELb0ELj16ELj16ELj1EEEvPT_PKS1_S4_T0_PKS5_S5_S7_jjjjjjbb
__PRETTY_FUNCTION__._ZN10amd_detail9transformIDF16_DF16_Lb1ELb1ELb0ELj16ELj16ELj1EEEvPT_PKS1_S4_T0_PKS5_S5_S7_jjjjjjbb:
	.asciz	"void amd_detail::transform(DType *, const DType *, const DType *, ScaleType, const ScaleType *, ScaleType, const ScaleType *, uint32_t, uint32_t, uint32_t, uint32_t, uint32_t, uint32_t, bool, bool) [DType = _Float16, ScaleType = _Float16, RowMajA = true, RowMajB = true, RowMajC = false, NumThreadsM = 16U, NumThreadsN = 16U, VectorWidth = 1U]"
	.size	__PRETTY_FUNCTION__._ZN10amd_detail9transformIDF16_DF16_Lb1ELb1ELb0ELj16ELj16ELj1EEEvPT_PKS1_S4_T0_PKS5_S5_S7_jjjjjjbb, 344

	.type	__PRETTY_FUNCTION__._ZN10amd_detail9transformIDF16_DF16_Lb1ELb1ELb0ELj16ELj16ELj4EEEvPT_PKS1_S4_T0_PKS5_S5_S7_jjjjjjbb,@object ; @__PRETTY_FUNCTION__._ZN10amd_detail9transformIDF16_DF16_Lb1ELb1ELb0ELj16ELj16ELj4EEEvPT_PKS1_S4_T0_PKS5_S5_S7_jjjjjjbb
__PRETTY_FUNCTION__._ZN10amd_detail9transformIDF16_DF16_Lb1ELb1ELb0ELj16ELj16ELj4EEEvPT_PKS1_S4_T0_PKS5_S5_S7_jjjjjjbb:
	.asciz	"void amd_detail::transform(DType *, const DType *, const DType *, ScaleType, const ScaleType *, ScaleType, const ScaleType *, uint32_t, uint32_t, uint32_t, uint32_t, uint32_t, uint32_t, bool, bool) [DType = _Float16, ScaleType = _Float16, RowMajA = true, RowMajB = true, RowMajC = false, NumThreadsM = 16U, NumThreadsN = 16U, VectorWidth = 4U]"
	.size	__PRETTY_FUNCTION__._ZN10amd_detail9transformIDF16_DF16_Lb1ELb1ELb0ELj16ELj16ELj4EEEvPT_PKS1_S4_T0_PKS5_S5_S7_jjjjjjbb, 344

	.type	__PRETTY_FUNCTION__._ZN10amd_detail9transformIDF16_DF16_Lb1ELb0ELb1ELj16ELj16ELj1EEEvPT_PKS1_S4_T0_PKS5_S5_S7_jjjjjjbb,@object ; @__PRETTY_FUNCTION__._ZN10amd_detail9transformIDF16_DF16_Lb1ELb0ELb1ELj16ELj16ELj1EEEvPT_PKS1_S4_T0_PKS5_S5_S7_jjjjjjbb
__PRETTY_FUNCTION__._ZN10amd_detail9transformIDF16_DF16_Lb1ELb0ELb1ELj16ELj16ELj1EEEvPT_PKS1_S4_T0_PKS5_S5_S7_jjjjjjbb:
	.asciz	"void amd_detail::transform(DType *, const DType *, const DType *, ScaleType, const ScaleType *, ScaleType, const ScaleType *, uint32_t, uint32_t, uint32_t, uint32_t, uint32_t, uint32_t, bool, bool) [DType = _Float16, ScaleType = _Float16, RowMajA = true, RowMajB = false, RowMajC = true, NumThreadsM = 16U, NumThreadsN = 16U, VectorWidth = 1U]"
	.size	__PRETTY_FUNCTION__._ZN10amd_detail9transformIDF16_DF16_Lb1ELb0ELb1ELj16ELj16ELj1EEEvPT_PKS1_S4_T0_PKS5_S5_S7_jjjjjjbb, 344

	.type	__PRETTY_FUNCTION__._ZN10amd_detail9transformIDF16_DF16_Lb1ELb0ELb1ELj16ELj16ELj4EEEvPT_PKS1_S4_T0_PKS5_S5_S7_jjjjjjbb,@object ; @__PRETTY_FUNCTION__._ZN10amd_detail9transformIDF16_DF16_Lb1ELb0ELb1ELj16ELj16ELj4EEEvPT_PKS1_S4_T0_PKS5_S5_S7_jjjjjjbb
__PRETTY_FUNCTION__._ZN10amd_detail9transformIDF16_DF16_Lb1ELb0ELb1ELj16ELj16ELj4EEEvPT_PKS1_S4_T0_PKS5_S5_S7_jjjjjjbb:
	.asciz	"void amd_detail::transform(DType *, const DType *, const DType *, ScaleType, const ScaleType *, ScaleType, const ScaleType *, uint32_t, uint32_t, uint32_t, uint32_t, uint32_t, uint32_t, bool, bool) [DType = _Float16, ScaleType = _Float16, RowMajA = true, RowMajB = false, RowMajC = true, NumThreadsM = 16U, NumThreadsN = 16U, VectorWidth = 4U]"
	.size	__PRETTY_FUNCTION__._ZN10amd_detail9transformIDF16_DF16_Lb1ELb0ELb1ELj16ELj16ELj4EEEvPT_PKS1_S4_T0_PKS5_S5_S7_jjjjjjbb, 344

	.type	__PRETTY_FUNCTION__._ZN10amd_detail9transformIDF16_DF16_Lb1ELb0ELb0ELj16ELj16ELj1EEEvPT_PKS1_S4_T0_PKS5_S5_S7_jjjjjjbb,@object ; @__PRETTY_FUNCTION__._ZN10amd_detail9transformIDF16_DF16_Lb1ELb0ELb0ELj16ELj16ELj1EEEvPT_PKS1_S4_T0_PKS5_S5_S7_jjjjjjbb
__PRETTY_FUNCTION__._ZN10amd_detail9transformIDF16_DF16_Lb1ELb0ELb0ELj16ELj16ELj1EEEvPT_PKS1_S4_T0_PKS5_S5_S7_jjjjjjbb:
	.asciz	"void amd_detail::transform(DType *, const DType *, const DType *, ScaleType, const ScaleType *, ScaleType, const ScaleType *, uint32_t, uint32_t, uint32_t, uint32_t, uint32_t, uint32_t, bool, bool) [DType = _Float16, ScaleType = _Float16, RowMajA = true, RowMajB = false, RowMajC = false, NumThreadsM = 16U, NumThreadsN = 16U, VectorWidth = 1U]"
	.size	__PRETTY_FUNCTION__._ZN10amd_detail9transformIDF16_DF16_Lb1ELb0ELb0ELj16ELj16ELj1EEEvPT_PKS1_S4_T0_PKS5_S5_S7_jjjjjjbb, 345

	.type	__PRETTY_FUNCTION__._ZN10amd_detail9transformIDF16_DF16_Lb1ELb0ELb0ELj16ELj16ELj4EEEvPT_PKS1_S4_T0_PKS5_S5_S7_jjjjjjbb,@object ; @__PRETTY_FUNCTION__._ZN10amd_detail9transformIDF16_DF16_Lb1ELb0ELb0ELj16ELj16ELj4EEEvPT_PKS1_S4_T0_PKS5_S5_S7_jjjjjjbb
__PRETTY_FUNCTION__._ZN10amd_detail9transformIDF16_DF16_Lb1ELb0ELb0ELj16ELj16ELj4EEEvPT_PKS1_S4_T0_PKS5_S5_S7_jjjjjjbb:
	.asciz	"void amd_detail::transform(DType *, const DType *, const DType *, ScaleType, const ScaleType *, ScaleType, const ScaleType *, uint32_t, uint32_t, uint32_t, uint32_t, uint32_t, uint32_t, bool, bool) [DType = _Float16, ScaleType = _Float16, RowMajA = true, RowMajB = false, RowMajC = false, NumThreadsM = 16U, NumThreadsN = 16U, VectorWidth = 4U]"
	.size	__PRETTY_FUNCTION__._ZN10amd_detail9transformIDF16_DF16_Lb1ELb0ELb0ELj16ELj16ELj4EEEvPT_PKS1_S4_T0_PKS5_S5_S7_jjjjjjbb, 345

	.type	__PRETTY_FUNCTION__._ZN10amd_detail9transformIDF16_DF16_Lb0ELb1ELb1ELj16ELj16ELj1EEEvPT_PKS1_S4_T0_PKS5_S5_S7_jjjjjjbb,@object ; @__PRETTY_FUNCTION__._ZN10amd_detail9transformIDF16_DF16_Lb0ELb1ELb1ELj16ELj16ELj1EEEvPT_PKS1_S4_T0_PKS5_S5_S7_jjjjjjbb
__PRETTY_FUNCTION__._ZN10amd_detail9transformIDF16_DF16_Lb0ELb1ELb1ELj16ELj16ELj1EEEvPT_PKS1_S4_T0_PKS5_S5_S7_jjjjjjbb:
	.asciz	"void amd_detail::transform(DType *, const DType *, const DType *, ScaleType, const ScaleType *, ScaleType, const ScaleType *, uint32_t, uint32_t, uint32_t, uint32_t, uint32_t, uint32_t, bool, bool) [DType = _Float16, ScaleType = _Float16, RowMajA = false, RowMajB = true, RowMajC = true, NumThreadsM = 16U, NumThreadsN = 16U, VectorWidth = 1U]"
	.size	__PRETTY_FUNCTION__._ZN10amd_detail9transformIDF16_DF16_Lb0ELb1ELb1ELj16ELj16ELj1EEEvPT_PKS1_S4_T0_PKS5_S5_S7_jjjjjjbb, 344

	.type	__PRETTY_FUNCTION__._ZN10amd_detail9transformIDF16_DF16_Lb0ELb1ELb1ELj16ELj16ELj4EEEvPT_PKS1_S4_T0_PKS5_S5_S7_jjjjjjbb,@object ; @__PRETTY_FUNCTION__._ZN10amd_detail9transformIDF16_DF16_Lb0ELb1ELb1ELj16ELj16ELj4EEEvPT_PKS1_S4_T0_PKS5_S5_S7_jjjjjjbb
__PRETTY_FUNCTION__._ZN10amd_detail9transformIDF16_DF16_Lb0ELb1ELb1ELj16ELj16ELj4EEEvPT_PKS1_S4_T0_PKS5_S5_S7_jjjjjjbb:
	.asciz	"void amd_detail::transform(DType *, const DType *, const DType *, ScaleType, const ScaleType *, ScaleType, const ScaleType *, uint32_t, uint32_t, uint32_t, uint32_t, uint32_t, uint32_t, bool, bool) [DType = _Float16, ScaleType = _Float16, RowMajA = false, RowMajB = true, RowMajC = true, NumThreadsM = 16U, NumThreadsN = 16U, VectorWidth = 4U]"
	.size	__PRETTY_FUNCTION__._ZN10amd_detail9transformIDF16_DF16_Lb0ELb1ELb1ELj16ELj16ELj4EEEvPT_PKS1_S4_T0_PKS5_S5_S7_jjjjjjbb, 344

	.type	__PRETTY_FUNCTION__._ZN10amd_detail9transformIDF16_DF16_Lb0ELb1ELb0ELj16ELj16ELj1EEEvPT_PKS1_S4_T0_PKS5_S5_S7_jjjjjjbb,@object ; @__PRETTY_FUNCTION__._ZN10amd_detail9transformIDF16_DF16_Lb0ELb1ELb0ELj16ELj16ELj1EEEvPT_PKS1_S4_T0_PKS5_S5_S7_jjjjjjbb
__PRETTY_FUNCTION__._ZN10amd_detail9transformIDF16_DF16_Lb0ELb1ELb0ELj16ELj16ELj1EEEvPT_PKS1_S4_T0_PKS5_S5_S7_jjjjjjbb:
	.asciz	"void amd_detail::transform(DType *, const DType *, const DType *, ScaleType, const ScaleType *, ScaleType, const ScaleType *, uint32_t, uint32_t, uint32_t, uint32_t, uint32_t, uint32_t, bool, bool) [DType = _Float16, ScaleType = _Float16, RowMajA = false, RowMajB = true, RowMajC = false, NumThreadsM = 16U, NumThreadsN = 16U, VectorWidth = 1U]"
	.size	__PRETTY_FUNCTION__._ZN10amd_detail9transformIDF16_DF16_Lb0ELb1ELb0ELj16ELj16ELj1EEEvPT_PKS1_S4_T0_PKS5_S5_S7_jjjjjjbb, 345

	.type	__PRETTY_FUNCTION__._ZN10amd_detail9transformIDF16_DF16_Lb0ELb1ELb0ELj16ELj16ELj4EEEvPT_PKS1_S4_T0_PKS5_S5_S7_jjjjjjbb,@object ; @__PRETTY_FUNCTION__._ZN10amd_detail9transformIDF16_DF16_Lb0ELb1ELb0ELj16ELj16ELj4EEEvPT_PKS1_S4_T0_PKS5_S5_S7_jjjjjjbb
__PRETTY_FUNCTION__._ZN10amd_detail9transformIDF16_DF16_Lb0ELb1ELb0ELj16ELj16ELj4EEEvPT_PKS1_S4_T0_PKS5_S5_S7_jjjjjjbb:
	.asciz	"void amd_detail::transform(DType *, const DType *, const DType *, ScaleType, const ScaleType *, ScaleType, const ScaleType *, uint32_t, uint32_t, uint32_t, uint32_t, uint32_t, uint32_t, bool, bool) [DType = _Float16, ScaleType = _Float16, RowMajA = false, RowMajB = true, RowMajC = false, NumThreadsM = 16U, NumThreadsN = 16U, VectorWidth = 4U]"
	.size	__PRETTY_FUNCTION__._ZN10amd_detail9transformIDF16_DF16_Lb0ELb1ELb0ELj16ELj16ELj4EEEvPT_PKS1_S4_T0_PKS5_S5_S7_jjjjjjbb, 345

	.type	__PRETTY_FUNCTION__._ZN10amd_detail9transformIDF16_DF16_Lb0ELb0ELb1ELj16ELj16ELj1EEEvPT_PKS1_S4_T0_PKS5_S5_S7_jjjjjjbb,@object ; @__PRETTY_FUNCTION__._ZN10amd_detail9transformIDF16_DF16_Lb0ELb0ELb1ELj16ELj16ELj1EEEvPT_PKS1_S4_T0_PKS5_S5_S7_jjjjjjbb
__PRETTY_FUNCTION__._ZN10amd_detail9transformIDF16_DF16_Lb0ELb0ELb1ELj16ELj16ELj1EEEvPT_PKS1_S4_T0_PKS5_S5_S7_jjjjjjbb:
	.asciz	"void amd_detail::transform(DType *, const DType *, const DType *, ScaleType, const ScaleType *, ScaleType, const ScaleType *, uint32_t, uint32_t, uint32_t, uint32_t, uint32_t, uint32_t, bool, bool) [DType = _Float16, ScaleType = _Float16, RowMajA = false, RowMajB = false, RowMajC = true, NumThreadsM = 16U, NumThreadsN = 16U, VectorWidth = 1U]"
	.size	__PRETTY_FUNCTION__._ZN10amd_detail9transformIDF16_DF16_Lb0ELb0ELb1ELj16ELj16ELj1EEEvPT_PKS1_S4_T0_PKS5_S5_S7_jjjjjjbb, 345

	.type	__PRETTY_FUNCTION__._ZN10amd_detail9transformIDF16_DF16_Lb0ELb0ELb1ELj16ELj16ELj4EEEvPT_PKS1_S4_T0_PKS5_S5_S7_jjjjjjbb,@object ; @__PRETTY_FUNCTION__._ZN10amd_detail9transformIDF16_DF16_Lb0ELb0ELb1ELj16ELj16ELj4EEEvPT_PKS1_S4_T0_PKS5_S5_S7_jjjjjjbb
__PRETTY_FUNCTION__._ZN10amd_detail9transformIDF16_DF16_Lb0ELb0ELb1ELj16ELj16ELj4EEEvPT_PKS1_S4_T0_PKS5_S5_S7_jjjjjjbb:
	.asciz	"void amd_detail::transform(DType *, const DType *, const DType *, ScaleType, const ScaleType *, ScaleType, const ScaleType *, uint32_t, uint32_t, uint32_t, uint32_t, uint32_t, uint32_t, bool, bool) [DType = _Float16, ScaleType = _Float16, RowMajA = false, RowMajB = false, RowMajC = true, NumThreadsM = 16U, NumThreadsN = 16U, VectorWidth = 4U]"
	.size	__PRETTY_FUNCTION__._ZN10amd_detail9transformIDF16_DF16_Lb0ELb0ELb1ELj16ELj16ELj4EEEvPT_PKS1_S4_T0_PKS5_S5_S7_jjjjjjbb, 345

	.type	__PRETTY_FUNCTION__._ZN10amd_detail9transformIDF16_DF16_Lb0ELb0ELb0ELj16ELj16ELj1EEEvPT_PKS1_S4_T0_PKS5_S5_S7_jjjjjjbb,@object ; @__PRETTY_FUNCTION__._ZN10amd_detail9transformIDF16_DF16_Lb0ELb0ELb0ELj16ELj16ELj1EEEvPT_PKS1_S4_T0_PKS5_S5_S7_jjjjjjbb
__PRETTY_FUNCTION__._ZN10amd_detail9transformIDF16_DF16_Lb0ELb0ELb0ELj16ELj16ELj1EEEvPT_PKS1_S4_T0_PKS5_S5_S7_jjjjjjbb:
	.asciz	"void amd_detail::transform(DType *, const DType *, const DType *, ScaleType, const ScaleType *, ScaleType, const ScaleType *, uint32_t, uint32_t, uint32_t, uint32_t, uint32_t, uint32_t, bool, bool) [DType = _Float16, ScaleType = _Float16, RowMajA = false, RowMajB = false, RowMajC = false, NumThreadsM = 16U, NumThreadsN = 16U, VectorWidth = 1U]"
	.size	__PRETTY_FUNCTION__._ZN10amd_detail9transformIDF16_DF16_Lb0ELb0ELb0ELj16ELj16ELj1EEEvPT_PKS1_S4_T0_PKS5_S5_S7_jjjjjjbb, 346

	.type	__PRETTY_FUNCTION__._ZN10amd_detail9transformIDF16_DF16_Lb0ELb0ELb0ELj16ELj16ELj4EEEvPT_PKS1_S4_T0_PKS5_S5_S7_jjjjjjbb,@object ; @__PRETTY_FUNCTION__._ZN10amd_detail9transformIDF16_DF16_Lb0ELb0ELb0ELj16ELj16ELj4EEEvPT_PKS1_S4_T0_PKS5_S5_S7_jjjjjjbb
__PRETTY_FUNCTION__._ZN10amd_detail9transformIDF16_DF16_Lb0ELb0ELb0ELj16ELj16ELj4EEEvPT_PKS1_S4_T0_PKS5_S5_S7_jjjjjjbb:
	.asciz	"void amd_detail::transform(DType *, const DType *, const DType *, ScaleType, const ScaleType *, ScaleType, const ScaleType *, uint32_t, uint32_t, uint32_t, uint32_t, uint32_t, uint32_t, bool, bool) [DType = _Float16, ScaleType = _Float16, RowMajA = false, RowMajB = false, RowMajC = false, NumThreadsM = 16U, NumThreadsN = 16U, VectorWidth = 4U]"
	.size	__PRETTY_FUNCTION__._ZN10amd_detail9transformIDF16_DF16_Lb0ELb0ELb0ELj16ELj16ELj4EEEvPT_PKS1_S4_T0_PKS5_S5_S7_jjjjjjbb, 346

	.type	__PRETTY_FUNCTION__._ZN10amd_detail9transformIDF16_fLb1ELb1ELb1ELj16ELj16ELj1EEEvPT_PKS1_S4_T0_PKS5_S5_S7_jjjjjjbb,@object ; @__PRETTY_FUNCTION__._ZN10amd_detail9transformIDF16_fLb1ELb1ELb1ELj16ELj16ELj1EEEvPT_PKS1_S4_T0_PKS5_S5_S7_jjjjjjbb
__PRETTY_FUNCTION__._ZN10amd_detail9transformIDF16_fLb1ELb1ELb1ELj16ELj16ELj1EEEvPT_PKS1_S4_T0_PKS5_S5_S7_jjjjjjbb:
	.asciz	"void amd_detail::transform(DType *, const DType *, const DType *, ScaleType, const ScaleType *, ScaleType, const ScaleType *, uint32_t, uint32_t, uint32_t, uint32_t, uint32_t, uint32_t, bool, bool) [DType = _Float16, ScaleType = float, RowMajA = true, RowMajB = true, RowMajC = true, NumThreadsM = 16U, NumThreadsN = 16U, VectorWidth = 1U]"
	.size	__PRETTY_FUNCTION__._ZN10amd_detail9transformIDF16_fLb1ELb1ELb1ELj16ELj16ELj1EEEvPT_PKS1_S4_T0_PKS5_S5_S7_jjjjjjbb, 340

	.type	__PRETTY_FUNCTION__._ZN10amd_detail9transformIDF16_fLb1ELb1ELb1ELj16ELj16ELj4EEEvPT_PKS1_S4_T0_PKS5_S5_S7_jjjjjjbb,@object ; @__PRETTY_FUNCTION__._ZN10amd_detail9transformIDF16_fLb1ELb1ELb1ELj16ELj16ELj4EEEvPT_PKS1_S4_T0_PKS5_S5_S7_jjjjjjbb
__PRETTY_FUNCTION__._ZN10amd_detail9transformIDF16_fLb1ELb1ELb1ELj16ELj16ELj4EEEvPT_PKS1_S4_T0_PKS5_S5_S7_jjjjjjbb:
	.asciz	"void amd_detail::transform(DType *, const DType *, const DType *, ScaleType, const ScaleType *, ScaleType, const ScaleType *, uint32_t, uint32_t, uint32_t, uint32_t, uint32_t, uint32_t, bool, bool) [DType = _Float16, ScaleType = float, RowMajA = true, RowMajB = true, RowMajC = true, NumThreadsM = 16U, NumThreadsN = 16U, VectorWidth = 4U]"
	.size	__PRETTY_FUNCTION__._ZN10amd_detail9transformIDF16_fLb1ELb1ELb1ELj16ELj16ELj4EEEvPT_PKS1_S4_T0_PKS5_S5_S7_jjjjjjbb, 340

	.type	__PRETTY_FUNCTION__._ZN10amd_detail9transformIDF16_fLb1ELb1ELb0ELj16ELj16ELj1EEEvPT_PKS1_S4_T0_PKS5_S5_S7_jjjjjjbb,@object ; @__PRETTY_FUNCTION__._ZN10amd_detail9transformIDF16_fLb1ELb1ELb0ELj16ELj16ELj1EEEvPT_PKS1_S4_T0_PKS5_S5_S7_jjjjjjbb
__PRETTY_FUNCTION__._ZN10amd_detail9transformIDF16_fLb1ELb1ELb0ELj16ELj16ELj1EEEvPT_PKS1_S4_T0_PKS5_S5_S7_jjjjjjbb:
	.asciz	"void amd_detail::transform(DType *, const DType *, const DType *, ScaleType, const ScaleType *, ScaleType, const ScaleType *, uint32_t, uint32_t, uint32_t, uint32_t, uint32_t, uint32_t, bool, bool) [DType = _Float16, ScaleType = float, RowMajA = true, RowMajB = true, RowMajC = false, NumThreadsM = 16U, NumThreadsN = 16U, VectorWidth = 1U]"
	.size	__PRETTY_FUNCTION__._ZN10amd_detail9transformIDF16_fLb1ELb1ELb0ELj16ELj16ELj1EEEvPT_PKS1_S4_T0_PKS5_S5_S7_jjjjjjbb, 341

	.type	__PRETTY_FUNCTION__._ZN10amd_detail9transformIDF16_fLb1ELb1ELb0ELj16ELj16ELj4EEEvPT_PKS1_S4_T0_PKS5_S5_S7_jjjjjjbb,@object ; @__PRETTY_FUNCTION__._ZN10amd_detail9transformIDF16_fLb1ELb1ELb0ELj16ELj16ELj4EEEvPT_PKS1_S4_T0_PKS5_S5_S7_jjjjjjbb
__PRETTY_FUNCTION__._ZN10amd_detail9transformIDF16_fLb1ELb1ELb0ELj16ELj16ELj4EEEvPT_PKS1_S4_T0_PKS5_S5_S7_jjjjjjbb:
	.asciz	"void amd_detail::transform(DType *, const DType *, const DType *, ScaleType, const ScaleType *, ScaleType, const ScaleType *, uint32_t, uint32_t, uint32_t, uint32_t, uint32_t, uint32_t, bool, bool) [DType = _Float16, ScaleType = float, RowMajA = true, RowMajB = true, RowMajC = false, NumThreadsM = 16U, NumThreadsN = 16U, VectorWidth = 4U]"
	.size	__PRETTY_FUNCTION__._ZN10amd_detail9transformIDF16_fLb1ELb1ELb0ELj16ELj16ELj4EEEvPT_PKS1_S4_T0_PKS5_S5_S7_jjjjjjbb, 341

	.type	__PRETTY_FUNCTION__._ZN10amd_detail9transformIDF16_fLb1ELb0ELb1ELj16ELj16ELj1EEEvPT_PKS1_S4_T0_PKS5_S5_S7_jjjjjjbb,@object ; @__PRETTY_FUNCTION__._ZN10amd_detail9transformIDF16_fLb1ELb0ELb1ELj16ELj16ELj1EEEvPT_PKS1_S4_T0_PKS5_S5_S7_jjjjjjbb
__PRETTY_FUNCTION__._ZN10amd_detail9transformIDF16_fLb1ELb0ELb1ELj16ELj16ELj1EEEvPT_PKS1_S4_T0_PKS5_S5_S7_jjjjjjbb:
	.asciz	"void amd_detail::transform(DType *, const DType *, const DType *, ScaleType, const ScaleType *, ScaleType, const ScaleType *, uint32_t, uint32_t, uint32_t, uint32_t, uint32_t, uint32_t, bool, bool) [DType = _Float16, ScaleType = float, RowMajA = true, RowMajB = false, RowMajC = true, NumThreadsM = 16U, NumThreadsN = 16U, VectorWidth = 1U]"
	.size	__PRETTY_FUNCTION__._ZN10amd_detail9transformIDF16_fLb1ELb0ELb1ELj16ELj16ELj1EEEvPT_PKS1_S4_T0_PKS5_S5_S7_jjjjjjbb, 341

	.type	__PRETTY_FUNCTION__._ZN10amd_detail9transformIDF16_fLb1ELb0ELb1ELj16ELj16ELj4EEEvPT_PKS1_S4_T0_PKS5_S5_S7_jjjjjjbb,@object ; @__PRETTY_FUNCTION__._ZN10amd_detail9transformIDF16_fLb1ELb0ELb1ELj16ELj16ELj4EEEvPT_PKS1_S4_T0_PKS5_S5_S7_jjjjjjbb
__PRETTY_FUNCTION__._ZN10amd_detail9transformIDF16_fLb1ELb0ELb1ELj16ELj16ELj4EEEvPT_PKS1_S4_T0_PKS5_S5_S7_jjjjjjbb:
	.asciz	"void amd_detail::transform(DType *, const DType *, const DType *, ScaleType, const ScaleType *, ScaleType, const ScaleType *, uint32_t, uint32_t, uint32_t, uint32_t, uint32_t, uint32_t, bool, bool) [DType = _Float16, ScaleType = float, RowMajA = true, RowMajB = false, RowMajC = true, NumThreadsM = 16U, NumThreadsN = 16U, VectorWidth = 4U]"
	.size	__PRETTY_FUNCTION__._ZN10amd_detail9transformIDF16_fLb1ELb0ELb1ELj16ELj16ELj4EEEvPT_PKS1_S4_T0_PKS5_S5_S7_jjjjjjbb, 341

	.type	__PRETTY_FUNCTION__._ZN10amd_detail9transformIDF16_fLb1ELb0ELb0ELj16ELj16ELj1EEEvPT_PKS1_S4_T0_PKS5_S5_S7_jjjjjjbb,@object ; @__PRETTY_FUNCTION__._ZN10amd_detail9transformIDF16_fLb1ELb0ELb0ELj16ELj16ELj1EEEvPT_PKS1_S4_T0_PKS5_S5_S7_jjjjjjbb
__PRETTY_FUNCTION__._ZN10amd_detail9transformIDF16_fLb1ELb0ELb0ELj16ELj16ELj1EEEvPT_PKS1_S4_T0_PKS5_S5_S7_jjjjjjbb:
	.asciz	"void amd_detail::transform(DType *, const DType *, const DType *, ScaleType, const ScaleType *, ScaleType, const ScaleType *, uint32_t, uint32_t, uint32_t, uint32_t, uint32_t, uint32_t, bool, bool) [DType = _Float16, ScaleType = float, RowMajA = true, RowMajB = false, RowMajC = false, NumThreadsM = 16U, NumThreadsN = 16U, VectorWidth = 1U]"
	.size	__PRETTY_FUNCTION__._ZN10amd_detail9transformIDF16_fLb1ELb0ELb0ELj16ELj16ELj1EEEvPT_PKS1_S4_T0_PKS5_S5_S7_jjjjjjbb, 342

	.type	__PRETTY_FUNCTION__._ZN10amd_detail9transformIDF16_fLb1ELb0ELb0ELj16ELj16ELj4EEEvPT_PKS1_S4_T0_PKS5_S5_S7_jjjjjjbb,@object ; @__PRETTY_FUNCTION__._ZN10amd_detail9transformIDF16_fLb1ELb0ELb0ELj16ELj16ELj4EEEvPT_PKS1_S4_T0_PKS5_S5_S7_jjjjjjbb
__PRETTY_FUNCTION__._ZN10amd_detail9transformIDF16_fLb1ELb0ELb0ELj16ELj16ELj4EEEvPT_PKS1_S4_T0_PKS5_S5_S7_jjjjjjbb:
	.asciz	"void amd_detail::transform(DType *, const DType *, const DType *, ScaleType, const ScaleType *, ScaleType, const ScaleType *, uint32_t, uint32_t, uint32_t, uint32_t, uint32_t, uint32_t, bool, bool) [DType = _Float16, ScaleType = float, RowMajA = true, RowMajB = false, RowMajC = false, NumThreadsM = 16U, NumThreadsN = 16U, VectorWidth = 4U]"
	.size	__PRETTY_FUNCTION__._ZN10amd_detail9transformIDF16_fLb1ELb0ELb0ELj16ELj16ELj4EEEvPT_PKS1_S4_T0_PKS5_S5_S7_jjjjjjbb, 342

	.type	__PRETTY_FUNCTION__._ZN10amd_detail9transformIDF16_fLb0ELb1ELb1ELj16ELj16ELj1EEEvPT_PKS1_S4_T0_PKS5_S5_S7_jjjjjjbb,@object ; @__PRETTY_FUNCTION__._ZN10amd_detail9transformIDF16_fLb0ELb1ELb1ELj16ELj16ELj1EEEvPT_PKS1_S4_T0_PKS5_S5_S7_jjjjjjbb
__PRETTY_FUNCTION__._ZN10amd_detail9transformIDF16_fLb0ELb1ELb1ELj16ELj16ELj1EEEvPT_PKS1_S4_T0_PKS5_S5_S7_jjjjjjbb:
	.asciz	"void amd_detail::transform(DType *, const DType *, const DType *, ScaleType, const ScaleType *, ScaleType, const ScaleType *, uint32_t, uint32_t, uint32_t, uint32_t, uint32_t, uint32_t, bool, bool) [DType = _Float16, ScaleType = float, RowMajA = false, RowMajB = true, RowMajC = true, NumThreadsM = 16U, NumThreadsN = 16U, VectorWidth = 1U]"
	.size	__PRETTY_FUNCTION__._ZN10amd_detail9transformIDF16_fLb0ELb1ELb1ELj16ELj16ELj1EEEvPT_PKS1_S4_T0_PKS5_S5_S7_jjjjjjbb, 341

	.type	__PRETTY_FUNCTION__._ZN10amd_detail9transformIDF16_fLb0ELb1ELb1ELj16ELj16ELj4EEEvPT_PKS1_S4_T0_PKS5_S5_S7_jjjjjjbb,@object ; @__PRETTY_FUNCTION__._ZN10amd_detail9transformIDF16_fLb0ELb1ELb1ELj16ELj16ELj4EEEvPT_PKS1_S4_T0_PKS5_S5_S7_jjjjjjbb
__PRETTY_FUNCTION__._ZN10amd_detail9transformIDF16_fLb0ELb1ELb1ELj16ELj16ELj4EEEvPT_PKS1_S4_T0_PKS5_S5_S7_jjjjjjbb:
	.asciz	"void amd_detail::transform(DType *, const DType *, const DType *, ScaleType, const ScaleType *, ScaleType, const ScaleType *, uint32_t, uint32_t, uint32_t, uint32_t, uint32_t, uint32_t, bool, bool) [DType = _Float16, ScaleType = float, RowMajA = false, RowMajB = true, RowMajC = true, NumThreadsM = 16U, NumThreadsN = 16U, VectorWidth = 4U]"
	.size	__PRETTY_FUNCTION__._ZN10amd_detail9transformIDF16_fLb0ELb1ELb1ELj16ELj16ELj4EEEvPT_PKS1_S4_T0_PKS5_S5_S7_jjjjjjbb, 341

	.type	__PRETTY_FUNCTION__._ZN10amd_detail9transformIDF16_fLb0ELb1ELb0ELj16ELj16ELj1EEEvPT_PKS1_S4_T0_PKS5_S5_S7_jjjjjjbb,@object ; @__PRETTY_FUNCTION__._ZN10amd_detail9transformIDF16_fLb0ELb1ELb0ELj16ELj16ELj1EEEvPT_PKS1_S4_T0_PKS5_S5_S7_jjjjjjbb
__PRETTY_FUNCTION__._ZN10amd_detail9transformIDF16_fLb0ELb1ELb0ELj16ELj16ELj1EEEvPT_PKS1_S4_T0_PKS5_S5_S7_jjjjjjbb:
	.asciz	"void amd_detail::transform(DType *, const DType *, const DType *, ScaleType, const ScaleType *, ScaleType, const ScaleType *, uint32_t, uint32_t, uint32_t, uint32_t, uint32_t, uint32_t, bool, bool) [DType = _Float16, ScaleType = float, RowMajA = false, RowMajB = true, RowMajC = false, NumThreadsM = 16U, NumThreadsN = 16U, VectorWidth = 1U]"
	.size	__PRETTY_FUNCTION__._ZN10amd_detail9transformIDF16_fLb0ELb1ELb0ELj16ELj16ELj1EEEvPT_PKS1_S4_T0_PKS5_S5_S7_jjjjjjbb, 342

	.type	__PRETTY_FUNCTION__._ZN10amd_detail9transformIDF16_fLb0ELb1ELb0ELj16ELj16ELj4EEEvPT_PKS1_S4_T0_PKS5_S5_S7_jjjjjjbb,@object ; @__PRETTY_FUNCTION__._ZN10amd_detail9transformIDF16_fLb0ELb1ELb0ELj16ELj16ELj4EEEvPT_PKS1_S4_T0_PKS5_S5_S7_jjjjjjbb
__PRETTY_FUNCTION__._ZN10amd_detail9transformIDF16_fLb0ELb1ELb0ELj16ELj16ELj4EEEvPT_PKS1_S4_T0_PKS5_S5_S7_jjjjjjbb:
	.asciz	"void amd_detail::transform(DType *, const DType *, const DType *, ScaleType, const ScaleType *, ScaleType, const ScaleType *, uint32_t, uint32_t, uint32_t, uint32_t, uint32_t, uint32_t, bool, bool) [DType = _Float16, ScaleType = float, RowMajA = false, RowMajB = true, RowMajC = false, NumThreadsM = 16U, NumThreadsN = 16U, VectorWidth = 4U]"
	.size	__PRETTY_FUNCTION__._ZN10amd_detail9transformIDF16_fLb0ELb1ELb0ELj16ELj16ELj4EEEvPT_PKS1_S4_T0_PKS5_S5_S7_jjjjjjbb, 342

	.type	__PRETTY_FUNCTION__._ZN10amd_detail9transformIDF16_fLb0ELb0ELb1ELj16ELj16ELj1EEEvPT_PKS1_S4_T0_PKS5_S5_S7_jjjjjjbb,@object ; @__PRETTY_FUNCTION__._ZN10amd_detail9transformIDF16_fLb0ELb0ELb1ELj16ELj16ELj1EEEvPT_PKS1_S4_T0_PKS5_S5_S7_jjjjjjbb
__PRETTY_FUNCTION__._ZN10amd_detail9transformIDF16_fLb0ELb0ELb1ELj16ELj16ELj1EEEvPT_PKS1_S4_T0_PKS5_S5_S7_jjjjjjbb:
	.asciz	"void amd_detail::transform(DType *, const DType *, const DType *, ScaleType, const ScaleType *, ScaleType, const ScaleType *, uint32_t, uint32_t, uint32_t, uint32_t, uint32_t, uint32_t, bool, bool) [DType = _Float16, ScaleType = float, RowMajA = false, RowMajB = false, RowMajC = true, NumThreadsM = 16U, NumThreadsN = 16U, VectorWidth = 1U]"
	.size	__PRETTY_FUNCTION__._ZN10amd_detail9transformIDF16_fLb0ELb0ELb1ELj16ELj16ELj1EEEvPT_PKS1_S4_T0_PKS5_S5_S7_jjjjjjbb, 342

	.type	__PRETTY_FUNCTION__._ZN10amd_detail9transformIDF16_fLb0ELb0ELb1ELj16ELj16ELj4EEEvPT_PKS1_S4_T0_PKS5_S5_S7_jjjjjjbb,@object ; @__PRETTY_FUNCTION__._ZN10amd_detail9transformIDF16_fLb0ELb0ELb1ELj16ELj16ELj4EEEvPT_PKS1_S4_T0_PKS5_S5_S7_jjjjjjbb
__PRETTY_FUNCTION__._ZN10amd_detail9transformIDF16_fLb0ELb0ELb1ELj16ELj16ELj4EEEvPT_PKS1_S4_T0_PKS5_S5_S7_jjjjjjbb:
	.asciz	"void amd_detail::transform(DType *, const DType *, const DType *, ScaleType, const ScaleType *, ScaleType, const ScaleType *, uint32_t, uint32_t, uint32_t, uint32_t, uint32_t, uint32_t, bool, bool) [DType = _Float16, ScaleType = float, RowMajA = false, RowMajB = false, RowMajC = true, NumThreadsM = 16U, NumThreadsN = 16U, VectorWidth = 4U]"
	.size	__PRETTY_FUNCTION__._ZN10amd_detail9transformIDF16_fLb0ELb0ELb1ELj16ELj16ELj4EEEvPT_PKS1_S4_T0_PKS5_S5_S7_jjjjjjbb, 342

	.type	__PRETTY_FUNCTION__._ZN10amd_detail9transformIDF16_fLb0ELb0ELb0ELj16ELj16ELj1EEEvPT_PKS1_S4_T0_PKS5_S5_S7_jjjjjjbb,@object ; @__PRETTY_FUNCTION__._ZN10amd_detail9transformIDF16_fLb0ELb0ELb0ELj16ELj16ELj1EEEvPT_PKS1_S4_T0_PKS5_S5_S7_jjjjjjbb
__PRETTY_FUNCTION__._ZN10amd_detail9transformIDF16_fLb0ELb0ELb0ELj16ELj16ELj1EEEvPT_PKS1_S4_T0_PKS5_S5_S7_jjjjjjbb:
	.asciz	"void amd_detail::transform(DType *, const DType *, const DType *, ScaleType, const ScaleType *, ScaleType, const ScaleType *, uint32_t, uint32_t, uint32_t, uint32_t, uint32_t, uint32_t, bool, bool) [DType = _Float16, ScaleType = float, RowMajA = false, RowMajB = false, RowMajC = false, NumThreadsM = 16U, NumThreadsN = 16U, VectorWidth = 1U]"
	.size	__PRETTY_FUNCTION__._ZN10amd_detail9transformIDF16_fLb0ELb0ELb0ELj16ELj16ELj1EEEvPT_PKS1_S4_T0_PKS5_S5_S7_jjjjjjbb, 343

	.type	__PRETTY_FUNCTION__._ZN10amd_detail9transformIDF16_fLb0ELb0ELb0ELj16ELj16ELj4EEEvPT_PKS1_S4_T0_PKS5_S5_S7_jjjjjjbb,@object ; @__PRETTY_FUNCTION__._ZN10amd_detail9transformIDF16_fLb0ELb0ELb0ELj16ELj16ELj4EEEvPT_PKS1_S4_T0_PKS5_S5_S7_jjjjjjbb
__PRETTY_FUNCTION__._ZN10amd_detail9transformIDF16_fLb0ELb0ELb0ELj16ELj16ELj4EEEvPT_PKS1_S4_T0_PKS5_S5_S7_jjjjjjbb:
	.asciz	"void amd_detail::transform(DType *, const DType *, const DType *, ScaleType, const ScaleType *, ScaleType, const ScaleType *, uint32_t, uint32_t, uint32_t, uint32_t, uint32_t, uint32_t, bool, bool) [DType = _Float16, ScaleType = float, RowMajA = false, RowMajB = false, RowMajC = false, NumThreadsM = 16U, NumThreadsN = 16U, VectorWidth = 4U]"
	.size	__PRETTY_FUNCTION__._ZN10amd_detail9transformIDF16_fLb0ELb0ELb0ELj16ELj16ELj4EEEvPT_PKS1_S4_T0_PKS5_S5_S7_jjjjjjbb, 343

	.type	__PRETTY_FUNCTION__._ZN10amd_detail9transformI12hip_bfloat16fLb1ELb1ELb1ELj16ELj16ELj1EEEvPT_PKS2_S5_T0_PKS6_S6_S8_jjjjjjbb,@object ; @__PRETTY_FUNCTION__._ZN10amd_detail9transformI12hip_bfloat16fLb1ELb1ELb1ELj16ELj16ELj1EEEvPT_PKS2_S5_T0_PKS6_S6_S8_jjjjjjbb
__PRETTY_FUNCTION__._ZN10amd_detail9transformI12hip_bfloat16fLb1ELb1ELb1ELj16ELj16ELj1EEEvPT_PKS2_S5_T0_PKS6_S6_S8_jjjjjjbb:
	.asciz	"void amd_detail::transform(DType *, const DType *, const DType *, ScaleType, const ScaleType *, ScaleType, const ScaleType *, uint32_t, uint32_t, uint32_t, uint32_t, uint32_t, uint32_t, bool, bool) [DType = hip_bfloat16, ScaleType = float, RowMajA = true, RowMajB = true, RowMajC = true, NumThreadsM = 16U, NumThreadsN = 16U, VectorWidth = 1U]"
	.size	__PRETTY_FUNCTION__._ZN10amd_detail9transformI12hip_bfloat16fLb1ELb1ELb1ELj16ELj16ELj1EEEvPT_PKS2_S5_T0_PKS6_S6_S8_jjjjjjbb, 344

	.type	__PRETTY_FUNCTION__._ZN10amd_detail9transformI12hip_bfloat16fLb1ELb1ELb1ELj16ELj16ELj4EEEvPT_PKS2_S5_T0_PKS6_S6_S8_jjjjjjbb,@object ; @__PRETTY_FUNCTION__._ZN10amd_detail9transformI12hip_bfloat16fLb1ELb1ELb1ELj16ELj16ELj4EEEvPT_PKS2_S5_T0_PKS6_S6_S8_jjjjjjbb
__PRETTY_FUNCTION__._ZN10amd_detail9transformI12hip_bfloat16fLb1ELb1ELb1ELj16ELj16ELj4EEEvPT_PKS2_S5_T0_PKS6_S6_S8_jjjjjjbb:
	.asciz	"void amd_detail::transform(DType *, const DType *, const DType *, ScaleType, const ScaleType *, ScaleType, const ScaleType *, uint32_t, uint32_t, uint32_t, uint32_t, uint32_t, uint32_t, bool, bool) [DType = hip_bfloat16, ScaleType = float, RowMajA = true, RowMajB = true, RowMajC = true, NumThreadsM = 16U, NumThreadsN = 16U, VectorWidth = 4U]"
	.size	__PRETTY_FUNCTION__._ZN10amd_detail9transformI12hip_bfloat16fLb1ELb1ELb1ELj16ELj16ELj4EEEvPT_PKS2_S5_T0_PKS6_S6_S8_jjjjjjbb, 344

	.type	__PRETTY_FUNCTION__._ZN10amd_detail9transformI12hip_bfloat16fLb1ELb1ELb0ELj16ELj16ELj1EEEvPT_PKS2_S5_T0_PKS6_S6_S8_jjjjjjbb,@object ; @__PRETTY_FUNCTION__._ZN10amd_detail9transformI12hip_bfloat16fLb1ELb1ELb0ELj16ELj16ELj1EEEvPT_PKS2_S5_T0_PKS6_S6_S8_jjjjjjbb
__PRETTY_FUNCTION__._ZN10amd_detail9transformI12hip_bfloat16fLb1ELb1ELb0ELj16ELj16ELj1EEEvPT_PKS2_S5_T0_PKS6_S6_S8_jjjjjjbb:
	.asciz	"void amd_detail::transform(DType *, const DType *, const DType *, ScaleType, const ScaleType *, ScaleType, const ScaleType *, uint32_t, uint32_t, uint32_t, uint32_t, uint32_t, uint32_t, bool, bool) [DType = hip_bfloat16, ScaleType = float, RowMajA = true, RowMajB = true, RowMajC = false, NumThreadsM = 16U, NumThreadsN = 16U, VectorWidth = 1U]"
	.size	__PRETTY_FUNCTION__._ZN10amd_detail9transformI12hip_bfloat16fLb1ELb1ELb0ELj16ELj16ELj1EEEvPT_PKS2_S5_T0_PKS6_S6_S8_jjjjjjbb, 345

	.type	__PRETTY_FUNCTION__._ZN10amd_detail9transformI12hip_bfloat16fLb1ELb1ELb0ELj16ELj16ELj4EEEvPT_PKS2_S5_T0_PKS6_S6_S8_jjjjjjbb,@object ; @__PRETTY_FUNCTION__._ZN10amd_detail9transformI12hip_bfloat16fLb1ELb1ELb0ELj16ELj16ELj4EEEvPT_PKS2_S5_T0_PKS6_S6_S8_jjjjjjbb
__PRETTY_FUNCTION__._ZN10amd_detail9transformI12hip_bfloat16fLb1ELb1ELb0ELj16ELj16ELj4EEEvPT_PKS2_S5_T0_PKS6_S6_S8_jjjjjjbb:
	.asciz	"void amd_detail::transform(DType *, const DType *, const DType *, ScaleType, const ScaleType *, ScaleType, const ScaleType *, uint32_t, uint32_t, uint32_t, uint32_t, uint32_t, uint32_t, bool, bool) [DType = hip_bfloat16, ScaleType = float, RowMajA = true, RowMajB = true, RowMajC = false, NumThreadsM = 16U, NumThreadsN = 16U, VectorWidth = 4U]"
	.size	__PRETTY_FUNCTION__._ZN10amd_detail9transformI12hip_bfloat16fLb1ELb1ELb0ELj16ELj16ELj4EEEvPT_PKS2_S5_T0_PKS6_S6_S8_jjjjjjbb, 345

	.type	__PRETTY_FUNCTION__._ZN10amd_detail9transformI12hip_bfloat16fLb1ELb0ELb1ELj16ELj16ELj1EEEvPT_PKS2_S5_T0_PKS6_S6_S8_jjjjjjbb,@object ; @__PRETTY_FUNCTION__._ZN10amd_detail9transformI12hip_bfloat16fLb1ELb0ELb1ELj16ELj16ELj1EEEvPT_PKS2_S5_T0_PKS6_S6_S8_jjjjjjbb
__PRETTY_FUNCTION__._ZN10amd_detail9transformI12hip_bfloat16fLb1ELb0ELb1ELj16ELj16ELj1EEEvPT_PKS2_S5_T0_PKS6_S6_S8_jjjjjjbb:
	.asciz	"void amd_detail::transform(DType *, const DType *, const DType *, ScaleType, const ScaleType *, ScaleType, const ScaleType *, uint32_t, uint32_t, uint32_t, uint32_t, uint32_t, uint32_t, bool, bool) [DType = hip_bfloat16, ScaleType = float, RowMajA = true, RowMajB = false, RowMajC = true, NumThreadsM = 16U, NumThreadsN = 16U, VectorWidth = 1U]"
	.size	__PRETTY_FUNCTION__._ZN10amd_detail9transformI12hip_bfloat16fLb1ELb0ELb1ELj16ELj16ELj1EEEvPT_PKS2_S5_T0_PKS6_S6_S8_jjjjjjbb, 345

	.type	__PRETTY_FUNCTION__._ZN10amd_detail9transformI12hip_bfloat16fLb1ELb0ELb1ELj16ELj16ELj4EEEvPT_PKS2_S5_T0_PKS6_S6_S8_jjjjjjbb,@object ; @__PRETTY_FUNCTION__._ZN10amd_detail9transformI12hip_bfloat16fLb1ELb0ELb1ELj16ELj16ELj4EEEvPT_PKS2_S5_T0_PKS6_S6_S8_jjjjjjbb
__PRETTY_FUNCTION__._ZN10amd_detail9transformI12hip_bfloat16fLb1ELb0ELb1ELj16ELj16ELj4EEEvPT_PKS2_S5_T0_PKS6_S6_S8_jjjjjjbb:
	.asciz	"void amd_detail::transform(DType *, const DType *, const DType *, ScaleType, const ScaleType *, ScaleType, const ScaleType *, uint32_t, uint32_t, uint32_t, uint32_t, uint32_t, uint32_t, bool, bool) [DType = hip_bfloat16, ScaleType = float, RowMajA = true, RowMajB = false, RowMajC = true, NumThreadsM = 16U, NumThreadsN = 16U, VectorWidth = 4U]"
	.size	__PRETTY_FUNCTION__._ZN10amd_detail9transformI12hip_bfloat16fLb1ELb0ELb1ELj16ELj16ELj4EEEvPT_PKS2_S5_T0_PKS6_S6_S8_jjjjjjbb, 345

	.type	__PRETTY_FUNCTION__._ZN10amd_detail9transformI12hip_bfloat16fLb1ELb0ELb0ELj16ELj16ELj1EEEvPT_PKS2_S5_T0_PKS6_S6_S8_jjjjjjbb,@object ; @__PRETTY_FUNCTION__._ZN10amd_detail9transformI12hip_bfloat16fLb1ELb0ELb0ELj16ELj16ELj1EEEvPT_PKS2_S5_T0_PKS6_S6_S8_jjjjjjbb
__PRETTY_FUNCTION__._ZN10amd_detail9transformI12hip_bfloat16fLb1ELb0ELb0ELj16ELj16ELj1EEEvPT_PKS2_S5_T0_PKS6_S6_S8_jjjjjjbb:
	.asciz	"void amd_detail::transform(DType *, const DType *, const DType *, ScaleType, const ScaleType *, ScaleType, const ScaleType *, uint32_t, uint32_t, uint32_t, uint32_t, uint32_t, uint32_t, bool, bool) [DType = hip_bfloat16, ScaleType = float, RowMajA = true, RowMajB = false, RowMajC = false, NumThreadsM = 16U, NumThreadsN = 16U, VectorWidth = 1U]"
	.size	__PRETTY_FUNCTION__._ZN10amd_detail9transformI12hip_bfloat16fLb1ELb0ELb0ELj16ELj16ELj1EEEvPT_PKS2_S5_T0_PKS6_S6_S8_jjjjjjbb, 346

	.type	__PRETTY_FUNCTION__._ZN10amd_detail9transformI12hip_bfloat16fLb1ELb0ELb0ELj16ELj16ELj4EEEvPT_PKS2_S5_T0_PKS6_S6_S8_jjjjjjbb,@object ; @__PRETTY_FUNCTION__._ZN10amd_detail9transformI12hip_bfloat16fLb1ELb0ELb0ELj16ELj16ELj4EEEvPT_PKS2_S5_T0_PKS6_S6_S8_jjjjjjbb
__PRETTY_FUNCTION__._ZN10amd_detail9transformI12hip_bfloat16fLb1ELb0ELb0ELj16ELj16ELj4EEEvPT_PKS2_S5_T0_PKS6_S6_S8_jjjjjjbb:
	.asciz	"void amd_detail::transform(DType *, const DType *, const DType *, ScaleType, const ScaleType *, ScaleType, const ScaleType *, uint32_t, uint32_t, uint32_t, uint32_t, uint32_t, uint32_t, bool, bool) [DType = hip_bfloat16, ScaleType = float, RowMajA = true, RowMajB = false, RowMajC = false, NumThreadsM = 16U, NumThreadsN = 16U, VectorWidth = 4U]"
	.size	__PRETTY_FUNCTION__._ZN10amd_detail9transformI12hip_bfloat16fLb1ELb0ELb0ELj16ELj16ELj4EEEvPT_PKS2_S5_T0_PKS6_S6_S8_jjjjjjbb, 346

	.type	__PRETTY_FUNCTION__._ZN10amd_detail9transformI12hip_bfloat16fLb0ELb1ELb1ELj16ELj16ELj1EEEvPT_PKS2_S5_T0_PKS6_S6_S8_jjjjjjbb,@object ; @__PRETTY_FUNCTION__._ZN10amd_detail9transformI12hip_bfloat16fLb0ELb1ELb1ELj16ELj16ELj1EEEvPT_PKS2_S5_T0_PKS6_S6_S8_jjjjjjbb
__PRETTY_FUNCTION__._ZN10amd_detail9transformI12hip_bfloat16fLb0ELb1ELb1ELj16ELj16ELj1EEEvPT_PKS2_S5_T0_PKS6_S6_S8_jjjjjjbb:
	.asciz	"void amd_detail::transform(DType *, const DType *, const DType *, ScaleType, const ScaleType *, ScaleType, const ScaleType *, uint32_t, uint32_t, uint32_t, uint32_t, uint32_t, uint32_t, bool, bool) [DType = hip_bfloat16, ScaleType = float, RowMajA = false, RowMajB = true, RowMajC = true, NumThreadsM = 16U, NumThreadsN = 16U, VectorWidth = 1U]"
	.size	__PRETTY_FUNCTION__._ZN10amd_detail9transformI12hip_bfloat16fLb0ELb1ELb1ELj16ELj16ELj1EEEvPT_PKS2_S5_T0_PKS6_S6_S8_jjjjjjbb, 345

	.type	__PRETTY_FUNCTION__._ZN10amd_detail9transformI12hip_bfloat16fLb0ELb1ELb1ELj16ELj16ELj4EEEvPT_PKS2_S5_T0_PKS6_S6_S8_jjjjjjbb,@object ; @__PRETTY_FUNCTION__._ZN10amd_detail9transformI12hip_bfloat16fLb0ELb1ELb1ELj16ELj16ELj4EEEvPT_PKS2_S5_T0_PKS6_S6_S8_jjjjjjbb
__PRETTY_FUNCTION__._ZN10amd_detail9transformI12hip_bfloat16fLb0ELb1ELb1ELj16ELj16ELj4EEEvPT_PKS2_S5_T0_PKS6_S6_S8_jjjjjjbb:
	.asciz	"void amd_detail::transform(DType *, const DType *, const DType *, ScaleType, const ScaleType *, ScaleType, const ScaleType *, uint32_t, uint32_t, uint32_t, uint32_t, uint32_t, uint32_t, bool, bool) [DType = hip_bfloat16, ScaleType = float, RowMajA = false, RowMajB = true, RowMajC = true, NumThreadsM = 16U, NumThreadsN = 16U, VectorWidth = 4U]"
	.size	__PRETTY_FUNCTION__._ZN10amd_detail9transformI12hip_bfloat16fLb0ELb1ELb1ELj16ELj16ELj4EEEvPT_PKS2_S5_T0_PKS6_S6_S8_jjjjjjbb, 345

	.type	__PRETTY_FUNCTION__._ZN10amd_detail9transformI12hip_bfloat16fLb0ELb1ELb0ELj16ELj16ELj1EEEvPT_PKS2_S5_T0_PKS6_S6_S8_jjjjjjbb,@object ; @__PRETTY_FUNCTION__._ZN10amd_detail9transformI12hip_bfloat16fLb0ELb1ELb0ELj16ELj16ELj1EEEvPT_PKS2_S5_T0_PKS6_S6_S8_jjjjjjbb
__PRETTY_FUNCTION__._ZN10amd_detail9transformI12hip_bfloat16fLb0ELb1ELb0ELj16ELj16ELj1EEEvPT_PKS2_S5_T0_PKS6_S6_S8_jjjjjjbb:
	.asciz	"void amd_detail::transform(DType *, const DType *, const DType *, ScaleType, const ScaleType *, ScaleType, const ScaleType *, uint32_t, uint32_t, uint32_t, uint32_t, uint32_t, uint32_t, bool, bool) [DType = hip_bfloat16, ScaleType = float, RowMajA = false, RowMajB = true, RowMajC = false, NumThreadsM = 16U, NumThreadsN = 16U, VectorWidth = 1U]"
	.size	__PRETTY_FUNCTION__._ZN10amd_detail9transformI12hip_bfloat16fLb0ELb1ELb0ELj16ELj16ELj1EEEvPT_PKS2_S5_T0_PKS6_S6_S8_jjjjjjbb, 346

	.type	__PRETTY_FUNCTION__._ZN10amd_detail9transformI12hip_bfloat16fLb0ELb1ELb0ELj16ELj16ELj4EEEvPT_PKS2_S5_T0_PKS6_S6_S8_jjjjjjbb,@object ; @__PRETTY_FUNCTION__._ZN10amd_detail9transformI12hip_bfloat16fLb0ELb1ELb0ELj16ELj16ELj4EEEvPT_PKS2_S5_T0_PKS6_S6_S8_jjjjjjbb
__PRETTY_FUNCTION__._ZN10amd_detail9transformI12hip_bfloat16fLb0ELb1ELb0ELj16ELj16ELj4EEEvPT_PKS2_S5_T0_PKS6_S6_S8_jjjjjjbb:
	.asciz	"void amd_detail::transform(DType *, const DType *, const DType *, ScaleType, const ScaleType *, ScaleType, const ScaleType *, uint32_t, uint32_t, uint32_t, uint32_t, uint32_t, uint32_t, bool, bool) [DType = hip_bfloat16, ScaleType = float, RowMajA = false, RowMajB = true, RowMajC = false, NumThreadsM = 16U, NumThreadsN = 16U, VectorWidth = 4U]"
	.size	__PRETTY_FUNCTION__._ZN10amd_detail9transformI12hip_bfloat16fLb0ELb1ELb0ELj16ELj16ELj4EEEvPT_PKS2_S5_T0_PKS6_S6_S8_jjjjjjbb, 346

	.type	__PRETTY_FUNCTION__._ZN10amd_detail9transformI12hip_bfloat16fLb0ELb0ELb1ELj16ELj16ELj1EEEvPT_PKS2_S5_T0_PKS6_S6_S8_jjjjjjbb,@object ; @__PRETTY_FUNCTION__._ZN10amd_detail9transformI12hip_bfloat16fLb0ELb0ELb1ELj16ELj16ELj1EEEvPT_PKS2_S5_T0_PKS6_S6_S8_jjjjjjbb
__PRETTY_FUNCTION__._ZN10amd_detail9transformI12hip_bfloat16fLb0ELb0ELb1ELj16ELj16ELj1EEEvPT_PKS2_S5_T0_PKS6_S6_S8_jjjjjjbb:
	.asciz	"void amd_detail::transform(DType *, const DType *, const DType *, ScaleType, const ScaleType *, ScaleType, const ScaleType *, uint32_t, uint32_t, uint32_t, uint32_t, uint32_t, uint32_t, bool, bool) [DType = hip_bfloat16, ScaleType = float, RowMajA = false, RowMajB = false, RowMajC = true, NumThreadsM = 16U, NumThreadsN = 16U, VectorWidth = 1U]"
	.size	__PRETTY_FUNCTION__._ZN10amd_detail9transformI12hip_bfloat16fLb0ELb0ELb1ELj16ELj16ELj1EEEvPT_PKS2_S5_T0_PKS6_S6_S8_jjjjjjbb, 346

	.type	__PRETTY_FUNCTION__._ZN10amd_detail9transformI12hip_bfloat16fLb0ELb0ELb1ELj16ELj16ELj4EEEvPT_PKS2_S5_T0_PKS6_S6_S8_jjjjjjbb,@object ; @__PRETTY_FUNCTION__._ZN10amd_detail9transformI12hip_bfloat16fLb0ELb0ELb1ELj16ELj16ELj4EEEvPT_PKS2_S5_T0_PKS6_S6_S8_jjjjjjbb
__PRETTY_FUNCTION__._ZN10amd_detail9transformI12hip_bfloat16fLb0ELb0ELb1ELj16ELj16ELj4EEEvPT_PKS2_S5_T0_PKS6_S6_S8_jjjjjjbb:
	.asciz	"void amd_detail::transform(DType *, const DType *, const DType *, ScaleType, const ScaleType *, ScaleType, const ScaleType *, uint32_t, uint32_t, uint32_t, uint32_t, uint32_t, uint32_t, bool, bool) [DType = hip_bfloat16, ScaleType = float, RowMajA = false, RowMajB = false, RowMajC = true, NumThreadsM = 16U, NumThreadsN = 16U, VectorWidth = 4U]"
	.size	__PRETTY_FUNCTION__._ZN10amd_detail9transformI12hip_bfloat16fLb0ELb0ELb1ELj16ELj16ELj4EEEvPT_PKS2_S5_T0_PKS6_S6_S8_jjjjjjbb, 346

	.type	__PRETTY_FUNCTION__._ZN10amd_detail9transformI12hip_bfloat16fLb0ELb0ELb0ELj16ELj16ELj1EEEvPT_PKS2_S5_T0_PKS6_S6_S8_jjjjjjbb,@object ; @__PRETTY_FUNCTION__._ZN10amd_detail9transformI12hip_bfloat16fLb0ELb0ELb0ELj16ELj16ELj1EEEvPT_PKS2_S5_T0_PKS6_S6_S8_jjjjjjbb
__PRETTY_FUNCTION__._ZN10amd_detail9transformI12hip_bfloat16fLb0ELb0ELb0ELj16ELj16ELj1EEEvPT_PKS2_S5_T0_PKS6_S6_S8_jjjjjjbb:
	.asciz	"void amd_detail::transform(DType *, const DType *, const DType *, ScaleType, const ScaleType *, ScaleType, const ScaleType *, uint32_t, uint32_t, uint32_t, uint32_t, uint32_t, uint32_t, bool, bool) [DType = hip_bfloat16, ScaleType = float, RowMajA = false, RowMajB = false, RowMajC = false, NumThreadsM = 16U, NumThreadsN = 16U, VectorWidth = 1U]"
	.size	__PRETTY_FUNCTION__._ZN10amd_detail9transformI12hip_bfloat16fLb0ELb0ELb0ELj16ELj16ELj1EEEvPT_PKS2_S5_T0_PKS6_S6_S8_jjjjjjbb, 347

	.type	__PRETTY_FUNCTION__._ZN10amd_detail9transformI12hip_bfloat16fLb0ELb0ELb0ELj16ELj16ELj4EEEvPT_PKS2_S5_T0_PKS6_S6_S8_jjjjjjbb,@object ; @__PRETTY_FUNCTION__._ZN10amd_detail9transformI12hip_bfloat16fLb0ELb0ELb0ELj16ELj16ELj4EEEvPT_PKS2_S5_T0_PKS6_S6_S8_jjjjjjbb
__PRETTY_FUNCTION__._ZN10amd_detail9transformI12hip_bfloat16fLb0ELb0ELb0ELj16ELj16ELj4EEEvPT_PKS2_S5_T0_PKS6_S6_S8_jjjjjjbb:
	.asciz	"void amd_detail::transform(DType *, const DType *, const DType *, ScaleType, const ScaleType *, ScaleType, const ScaleType *, uint32_t, uint32_t, uint32_t, uint32_t, uint32_t, uint32_t, bool, bool) [DType = hip_bfloat16, ScaleType = float, RowMajA = false, RowMajB = false, RowMajC = false, NumThreadsM = 16U, NumThreadsN = 16U, VectorWidth = 4U]"
	.size	__PRETTY_FUNCTION__._ZN10amd_detail9transformI12hip_bfloat16fLb0ELb0ELb0ELj16ELj16ELj4EEEvPT_PKS2_S5_T0_PKS6_S6_S8_jjjjjjbb, 347

	.type	__PRETTY_FUNCTION__._ZN10amd_detail9transformIafLb1ELb1ELb1ELj16ELj16ELj1EEEvPT_PKS1_S4_T0_PKS5_S5_S7_jjjjjjbb,@object ; @__PRETTY_FUNCTION__._ZN10amd_detail9transformIafLb1ELb1ELb1ELj16ELj16ELj1EEEvPT_PKS1_S4_T0_PKS5_S5_S7_jjjjjjbb
__PRETTY_FUNCTION__._ZN10amd_detail9transformIafLb1ELb1ELb1ELj16ELj16ELj1EEEvPT_PKS1_S4_T0_PKS5_S5_S7_jjjjjjbb:
	.asciz	"void amd_detail::transform(DType *, const DType *, const DType *, ScaleType, const ScaleType *, ScaleType, const ScaleType *, uint32_t, uint32_t, uint32_t, uint32_t, uint32_t, uint32_t, bool, bool) [DType = signed char, ScaleType = float, RowMajA = true, RowMajB = true, RowMajC = true, NumThreadsM = 16U, NumThreadsN = 16U, VectorWidth = 1U]"
	.size	__PRETTY_FUNCTION__._ZN10amd_detail9transformIafLb1ELb1ELb1ELj16ELj16ELj1EEEvPT_PKS1_S4_T0_PKS5_S5_S7_jjjjjjbb, 343

	.type	__PRETTY_FUNCTION__._ZN10amd_detail9transformIafLb1ELb1ELb1ELj16ELj16ELj4EEEvPT_PKS1_S4_T0_PKS5_S5_S7_jjjjjjbb,@object ; @__PRETTY_FUNCTION__._ZN10amd_detail9transformIafLb1ELb1ELb1ELj16ELj16ELj4EEEvPT_PKS1_S4_T0_PKS5_S5_S7_jjjjjjbb
__PRETTY_FUNCTION__._ZN10amd_detail9transformIafLb1ELb1ELb1ELj16ELj16ELj4EEEvPT_PKS1_S4_T0_PKS5_S5_S7_jjjjjjbb:
	.asciz	"void amd_detail::transform(DType *, const DType *, const DType *, ScaleType, const ScaleType *, ScaleType, const ScaleType *, uint32_t, uint32_t, uint32_t, uint32_t, uint32_t, uint32_t, bool, bool) [DType = signed char, ScaleType = float, RowMajA = true, RowMajB = true, RowMajC = true, NumThreadsM = 16U, NumThreadsN = 16U, VectorWidth = 4U]"
	.size	__PRETTY_FUNCTION__._ZN10amd_detail9transformIafLb1ELb1ELb1ELj16ELj16ELj4EEEvPT_PKS1_S4_T0_PKS5_S5_S7_jjjjjjbb, 343

	.type	__PRETTY_FUNCTION__._ZN10amd_detail9transformIafLb1ELb1ELb0ELj16ELj16ELj1EEEvPT_PKS1_S4_T0_PKS5_S5_S7_jjjjjjbb,@object ; @__PRETTY_FUNCTION__._ZN10amd_detail9transformIafLb1ELb1ELb0ELj16ELj16ELj1EEEvPT_PKS1_S4_T0_PKS5_S5_S7_jjjjjjbb
__PRETTY_FUNCTION__._ZN10amd_detail9transformIafLb1ELb1ELb0ELj16ELj16ELj1EEEvPT_PKS1_S4_T0_PKS5_S5_S7_jjjjjjbb:
	.asciz	"void amd_detail::transform(DType *, const DType *, const DType *, ScaleType, const ScaleType *, ScaleType, const ScaleType *, uint32_t, uint32_t, uint32_t, uint32_t, uint32_t, uint32_t, bool, bool) [DType = signed char, ScaleType = float, RowMajA = true, RowMajB = true, RowMajC = false, NumThreadsM = 16U, NumThreadsN = 16U, VectorWidth = 1U]"
	.size	__PRETTY_FUNCTION__._ZN10amd_detail9transformIafLb1ELb1ELb0ELj16ELj16ELj1EEEvPT_PKS1_S4_T0_PKS5_S5_S7_jjjjjjbb, 344

	.type	__PRETTY_FUNCTION__._ZN10amd_detail9transformIafLb1ELb1ELb0ELj16ELj16ELj4EEEvPT_PKS1_S4_T0_PKS5_S5_S7_jjjjjjbb,@object ; @__PRETTY_FUNCTION__._ZN10amd_detail9transformIafLb1ELb1ELb0ELj16ELj16ELj4EEEvPT_PKS1_S4_T0_PKS5_S5_S7_jjjjjjbb
__PRETTY_FUNCTION__._ZN10amd_detail9transformIafLb1ELb1ELb0ELj16ELj16ELj4EEEvPT_PKS1_S4_T0_PKS5_S5_S7_jjjjjjbb:
	.asciz	"void amd_detail::transform(DType *, const DType *, const DType *, ScaleType, const ScaleType *, ScaleType, const ScaleType *, uint32_t, uint32_t, uint32_t, uint32_t, uint32_t, uint32_t, bool, bool) [DType = signed char, ScaleType = float, RowMajA = true, RowMajB = true, RowMajC = false, NumThreadsM = 16U, NumThreadsN = 16U, VectorWidth = 4U]"
	.size	__PRETTY_FUNCTION__._ZN10amd_detail9transformIafLb1ELb1ELb0ELj16ELj16ELj4EEEvPT_PKS1_S4_T0_PKS5_S5_S7_jjjjjjbb, 344

	.type	__PRETTY_FUNCTION__._ZN10amd_detail9transformIafLb1ELb0ELb1ELj16ELj16ELj1EEEvPT_PKS1_S4_T0_PKS5_S5_S7_jjjjjjbb,@object ; @__PRETTY_FUNCTION__._ZN10amd_detail9transformIafLb1ELb0ELb1ELj16ELj16ELj1EEEvPT_PKS1_S4_T0_PKS5_S5_S7_jjjjjjbb
__PRETTY_FUNCTION__._ZN10amd_detail9transformIafLb1ELb0ELb1ELj16ELj16ELj1EEEvPT_PKS1_S4_T0_PKS5_S5_S7_jjjjjjbb:
	.asciz	"void amd_detail::transform(DType *, const DType *, const DType *, ScaleType, const ScaleType *, ScaleType, const ScaleType *, uint32_t, uint32_t, uint32_t, uint32_t, uint32_t, uint32_t, bool, bool) [DType = signed char, ScaleType = float, RowMajA = true, RowMajB = false, RowMajC = true, NumThreadsM = 16U, NumThreadsN = 16U, VectorWidth = 1U]"
	.size	__PRETTY_FUNCTION__._ZN10amd_detail9transformIafLb1ELb0ELb1ELj16ELj16ELj1EEEvPT_PKS1_S4_T0_PKS5_S5_S7_jjjjjjbb, 344

	.type	__PRETTY_FUNCTION__._ZN10amd_detail9transformIafLb1ELb0ELb1ELj16ELj16ELj4EEEvPT_PKS1_S4_T0_PKS5_S5_S7_jjjjjjbb,@object ; @__PRETTY_FUNCTION__._ZN10amd_detail9transformIafLb1ELb0ELb1ELj16ELj16ELj4EEEvPT_PKS1_S4_T0_PKS5_S5_S7_jjjjjjbb
__PRETTY_FUNCTION__._ZN10amd_detail9transformIafLb1ELb0ELb1ELj16ELj16ELj4EEEvPT_PKS1_S4_T0_PKS5_S5_S7_jjjjjjbb:
	.asciz	"void amd_detail::transform(DType *, const DType *, const DType *, ScaleType, const ScaleType *, ScaleType, const ScaleType *, uint32_t, uint32_t, uint32_t, uint32_t, uint32_t, uint32_t, bool, bool) [DType = signed char, ScaleType = float, RowMajA = true, RowMajB = false, RowMajC = true, NumThreadsM = 16U, NumThreadsN = 16U, VectorWidth = 4U]"
	.size	__PRETTY_FUNCTION__._ZN10amd_detail9transformIafLb1ELb0ELb1ELj16ELj16ELj4EEEvPT_PKS1_S4_T0_PKS5_S5_S7_jjjjjjbb, 344

	.type	__PRETTY_FUNCTION__._ZN10amd_detail9transformIafLb1ELb0ELb0ELj16ELj16ELj1EEEvPT_PKS1_S4_T0_PKS5_S5_S7_jjjjjjbb,@object ; @__PRETTY_FUNCTION__._ZN10amd_detail9transformIafLb1ELb0ELb0ELj16ELj16ELj1EEEvPT_PKS1_S4_T0_PKS5_S5_S7_jjjjjjbb
__PRETTY_FUNCTION__._ZN10amd_detail9transformIafLb1ELb0ELb0ELj16ELj16ELj1EEEvPT_PKS1_S4_T0_PKS5_S5_S7_jjjjjjbb:
	.asciz	"void amd_detail::transform(DType *, const DType *, const DType *, ScaleType, const ScaleType *, ScaleType, const ScaleType *, uint32_t, uint32_t, uint32_t, uint32_t, uint32_t, uint32_t, bool, bool) [DType = signed char, ScaleType = float, RowMajA = true, RowMajB = false, RowMajC = false, NumThreadsM = 16U, NumThreadsN = 16U, VectorWidth = 1U]"
	.size	__PRETTY_FUNCTION__._ZN10amd_detail9transformIafLb1ELb0ELb0ELj16ELj16ELj1EEEvPT_PKS1_S4_T0_PKS5_S5_S7_jjjjjjbb, 345

	.type	__PRETTY_FUNCTION__._ZN10amd_detail9transformIafLb1ELb0ELb0ELj16ELj16ELj4EEEvPT_PKS1_S4_T0_PKS5_S5_S7_jjjjjjbb,@object ; @__PRETTY_FUNCTION__._ZN10amd_detail9transformIafLb1ELb0ELb0ELj16ELj16ELj4EEEvPT_PKS1_S4_T0_PKS5_S5_S7_jjjjjjbb
__PRETTY_FUNCTION__._ZN10amd_detail9transformIafLb1ELb0ELb0ELj16ELj16ELj4EEEvPT_PKS1_S4_T0_PKS5_S5_S7_jjjjjjbb:
	.asciz	"void amd_detail::transform(DType *, const DType *, const DType *, ScaleType, const ScaleType *, ScaleType, const ScaleType *, uint32_t, uint32_t, uint32_t, uint32_t, uint32_t, uint32_t, bool, bool) [DType = signed char, ScaleType = float, RowMajA = true, RowMajB = false, RowMajC = false, NumThreadsM = 16U, NumThreadsN = 16U, VectorWidth = 4U]"
	.size	__PRETTY_FUNCTION__._ZN10amd_detail9transformIafLb1ELb0ELb0ELj16ELj16ELj4EEEvPT_PKS1_S4_T0_PKS5_S5_S7_jjjjjjbb, 345

	.type	__PRETTY_FUNCTION__._ZN10amd_detail9transformIafLb0ELb1ELb1ELj16ELj16ELj1EEEvPT_PKS1_S4_T0_PKS5_S5_S7_jjjjjjbb,@object ; @__PRETTY_FUNCTION__._ZN10amd_detail9transformIafLb0ELb1ELb1ELj16ELj16ELj1EEEvPT_PKS1_S4_T0_PKS5_S5_S7_jjjjjjbb
__PRETTY_FUNCTION__._ZN10amd_detail9transformIafLb0ELb1ELb1ELj16ELj16ELj1EEEvPT_PKS1_S4_T0_PKS5_S5_S7_jjjjjjbb:
	.asciz	"void amd_detail::transform(DType *, const DType *, const DType *, ScaleType, const ScaleType *, ScaleType, const ScaleType *, uint32_t, uint32_t, uint32_t, uint32_t, uint32_t, uint32_t, bool, bool) [DType = signed char, ScaleType = float, RowMajA = false, RowMajB = true, RowMajC = true, NumThreadsM = 16U, NumThreadsN = 16U, VectorWidth = 1U]"
	.size	__PRETTY_FUNCTION__._ZN10amd_detail9transformIafLb0ELb1ELb1ELj16ELj16ELj1EEEvPT_PKS1_S4_T0_PKS5_S5_S7_jjjjjjbb, 344

	.type	__PRETTY_FUNCTION__._ZN10amd_detail9transformIafLb0ELb1ELb1ELj16ELj16ELj4EEEvPT_PKS1_S4_T0_PKS5_S5_S7_jjjjjjbb,@object ; @__PRETTY_FUNCTION__._ZN10amd_detail9transformIafLb0ELb1ELb1ELj16ELj16ELj4EEEvPT_PKS1_S4_T0_PKS5_S5_S7_jjjjjjbb
__PRETTY_FUNCTION__._ZN10amd_detail9transformIafLb0ELb1ELb1ELj16ELj16ELj4EEEvPT_PKS1_S4_T0_PKS5_S5_S7_jjjjjjbb:
	.asciz	"void amd_detail::transform(DType *, const DType *, const DType *, ScaleType, const ScaleType *, ScaleType, const ScaleType *, uint32_t, uint32_t, uint32_t, uint32_t, uint32_t, uint32_t, bool, bool) [DType = signed char, ScaleType = float, RowMajA = false, RowMajB = true, RowMajC = true, NumThreadsM = 16U, NumThreadsN = 16U, VectorWidth = 4U]"
	.size	__PRETTY_FUNCTION__._ZN10amd_detail9transformIafLb0ELb1ELb1ELj16ELj16ELj4EEEvPT_PKS1_S4_T0_PKS5_S5_S7_jjjjjjbb, 344

	.type	__PRETTY_FUNCTION__._ZN10amd_detail9transformIafLb0ELb1ELb0ELj16ELj16ELj1EEEvPT_PKS1_S4_T0_PKS5_S5_S7_jjjjjjbb,@object ; @__PRETTY_FUNCTION__._ZN10amd_detail9transformIafLb0ELb1ELb0ELj16ELj16ELj1EEEvPT_PKS1_S4_T0_PKS5_S5_S7_jjjjjjbb
__PRETTY_FUNCTION__._ZN10amd_detail9transformIafLb0ELb1ELb0ELj16ELj16ELj1EEEvPT_PKS1_S4_T0_PKS5_S5_S7_jjjjjjbb:
	.asciz	"void amd_detail::transform(DType *, const DType *, const DType *, ScaleType, const ScaleType *, ScaleType, const ScaleType *, uint32_t, uint32_t, uint32_t, uint32_t, uint32_t, uint32_t, bool, bool) [DType = signed char, ScaleType = float, RowMajA = false, RowMajB = true, RowMajC = false, NumThreadsM = 16U, NumThreadsN = 16U, VectorWidth = 1U]"
	.size	__PRETTY_FUNCTION__._ZN10amd_detail9transformIafLb0ELb1ELb0ELj16ELj16ELj1EEEvPT_PKS1_S4_T0_PKS5_S5_S7_jjjjjjbb, 345

	.type	__PRETTY_FUNCTION__._ZN10amd_detail9transformIafLb0ELb1ELb0ELj16ELj16ELj4EEEvPT_PKS1_S4_T0_PKS5_S5_S7_jjjjjjbb,@object ; @__PRETTY_FUNCTION__._ZN10amd_detail9transformIafLb0ELb1ELb0ELj16ELj16ELj4EEEvPT_PKS1_S4_T0_PKS5_S5_S7_jjjjjjbb
__PRETTY_FUNCTION__._ZN10amd_detail9transformIafLb0ELb1ELb0ELj16ELj16ELj4EEEvPT_PKS1_S4_T0_PKS5_S5_S7_jjjjjjbb:
	.asciz	"void amd_detail::transform(DType *, const DType *, const DType *, ScaleType, const ScaleType *, ScaleType, const ScaleType *, uint32_t, uint32_t, uint32_t, uint32_t, uint32_t, uint32_t, bool, bool) [DType = signed char, ScaleType = float, RowMajA = false, RowMajB = true, RowMajC = false, NumThreadsM = 16U, NumThreadsN = 16U, VectorWidth = 4U]"
	.size	__PRETTY_FUNCTION__._ZN10amd_detail9transformIafLb0ELb1ELb0ELj16ELj16ELj4EEEvPT_PKS1_S4_T0_PKS5_S5_S7_jjjjjjbb, 345

	.type	__PRETTY_FUNCTION__._ZN10amd_detail9transformIafLb0ELb0ELb1ELj16ELj16ELj1EEEvPT_PKS1_S4_T0_PKS5_S5_S7_jjjjjjbb,@object ; @__PRETTY_FUNCTION__._ZN10amd_detail9transformIafLb0ELb0ELb1ELj16ELj16ELj1EEEvPT_PKS1_S4_T0_PKS5_S5_S7_jjjjjjbb
__PRETTY_FUNCTION__._ZN10amd_detail9transformIafLb0ELb0ELb1ELj16ELj16ELj1EEEvPT_PKS1_S4_T0_PKS5_S5_S7_jjjjjjbb:
	.asciz	"void amd_detail::transform(DType *, const DType *, const DType *, ScaleType, const ScaleType *, ScaleType, const ScaleType *, uint32_t, uint32_t, uint32_t, uint32_t, uint32_t, uint32_t, bool, bool) [DType = signed char, ScaleType = float, RowMajA = false, RowMajB = false, RowMajC = true, NumThreadsM = 16U, NumThreadsN = 16U, VectorWidth = 1U]"
	.size	__PRETTY_FUNCTION__._ZN10amd_detail9transformIafLb0ELb0ELb1ELj16ELj16ELj1EEEvPT_PKS1_S4_T0_PKS5_S5_S7_jjjjjjbb, 345

	.type	__PRETTY_FUNCTION__._ZN10amd_detail9transformIafLb0ELb0ELb1ELj16ELj16ELj4EEEvPT_PKS1_S4_T0_PKS5_S5_S7_jjjjjjbb,@object ; @__PRETTY_FUNCTION__._ZN10amd_detail9transformIafLb0ELb0ELb1ELj16ELj16ELj4EEEvPT_PKS1_S4_T0_PKS5_S5_S7_jjjjjjbb
__PRETTY_FUNCTION__._ZN10amd_detail9transformIafLb0ELb0ELb1ELj16ELj16ELj4EEEvPT_PKS1_S4_T0_PKS5_S5_S7_jjjjjjbb:
	.asciz	"void amd_detail::transform(DType *, const DType *, const DType *, ScaleType, const ScaleType *, ScaleType, const ScaleType *, uint32_t, uint32_t, uint32_t, uint32_t, uint32_t, uint32_t, bool, bool) [DType = signed char, ScaleType = float, RowMajA = false, RowMajB = false, RowMajC = true, NumThreadsM = 16U, NumThreadsN = 16U, VectorWidth = 4U]"
	.size	__PRETTY_FUNCTION__._ZN10amd_detail9transformIafLb0ELb0ELb1ELj16ELj16ELj4EEEvPT_PKS1_S4_T0_PKS5_S5_S7_jjjjjjbb, 345

	.type	__PRETTY_FUNCTION__._ZN10amd_detail9transformIafLb0ELb0ELb0ELj16ELj16ELj1EEEvPT_PKS1_S4_T0_PKS5_S5_S7_jjjjjjbb,@object ; @__PRETTY_FUNCTION__._ZN10amd_detail9transformIafLb0ELb0ELb0ELj16ELj16ELj1EEEvPT_PKS1_S4_T0_PKS5_S5_S7_jjjjjjbb
__PRETTY_FUNCTION__._ZN10amd_detail9transformIafLb0ELb0ELb0ELj16ELj16ELj1EEEvPT_PKS1_S4_T0_PKS5_S5_S7_jjjjjjbb:
	.asciz	"void amd_detail::transform(DType *, const DType *, const DType *, ScaleType, const ScaleType *, ScaleType, const ScaleType *, uint32_t, uint32_t, uint32_t, uint32_t, uint32_t, uint32_t, bool, bool) [DType = signed char, ScaleType = float, RowMajA = false, RowMajB = false, RowMajC = false, NumThreadsM = 16U, NumThreadsN = 16U, VectorWidth = 1U]"
	.size	__PRETTY_FUNCTION__._ZN10amd_detail9transformIafLb0ELb0ELb0ELj16ELj16ELj1EEEvPT_PKS1_S4_T0_PKS5_S5_S7_jjjjjjbb, 346

	.type	__PRETTY_FUNCTION__._ZN10amd_detail9transformIafLb0ELb0ELb0ELj16ELj16ELj4EEEvPT_PKS1_S4_T0_PKS5_S5_S7_jjjjjjbb,@object ; @__PRETTY_FUNCTION__._ZN10amd_detail9transformIafLb0ELb0ELb0ELj16ELj16ELj4EEEvPT_PKS1_S4_T0_PKS5_S5_S7_jjjjjjbb
__PRETTY_FUNCTION__._ZN10amd_detail9transformIafLb0ELb0ELb0ELj16ELj16ELj4EEEvPT_PKS1_S4_T0_PKS5_S5_S7_jjjjjjbb:
	.asciz	"void amd_detail::transform(DType *, const DType *, const DType *, ScaleType, const ScaleType *, ScaleType, const ScaleType *, uint32_t, uint32_t, uint32_t, uint32_t, uint32_t, uint32_t, bool, bool) [DType = signed char, ScaleType = float, RowMajA = false, RowMajB = false, RowMajC = false, NumThreadsM = 16U, NumThreadsN = 16U, VectorWidth = 4U]"
	.size	__PRETTY_FUNCTION__._ZN10amd_detail9transformIafLb0ELb0ELb0ELj16ELj16ELj4EEEvPT_PKS1_S4_T0_PKS5_S5_S7_jjjjjjbb, 346

	.type	__PRETTY_FUNCTION__._ZN10amd_detail9transformIifLb1ELb1ELb1ELj16ELj16ELj1EEEvPT_PKS1_S4_T0_PKS5_S5_S7_jjjjjjbb,@object ; @__PRETTY_FUNCTION__._ZN10amd_detail9transformIifLb1ELb1ELb1ELj16ELj16ELj1EEEvPT_PKS1_S4_T0_PKS5_S5_S7_jjjjjjbb
__PRETTY_FUNCTION__._ZN10amd_detail9transformIifLb1ELb1ELb1ELj16ELj16ELj1EEEvPT_PKS1_S4_T0_PKS5_S5_S7_jjjjjjbb:
	.asciz	"void amd_detail::transform(DType *, const DType *, const DType *, ScaleType, const ScaleType *, ScaleType, const ScaleType *, uint32_t, uint32_t, uint32_t, uint32_t, uint32_t, uint32_t, bool, bool) [DType = int, ScaleType = float, RowMajA = true, RowMajB = true, RowMajC = true, NumThreadsM = 16U, NumThreadsN = 16U, VectorWidth = 1U]"
	.size	__PRETTY_FUNCTION__._ZN10amd_detail9transformIifLb1ELb1ELb1ELj16ELj16ELj1EEEvPT_PKS1_S4_T0_PKS5_S5_S7_jjjjjjbb, 335

	.type	__PRETTY_FUNCTION__._ZN10amd_detail9transformIifLb1ELb1ELb1ELj16ELj16ELj4EEEvPT_PKS1_S4_T0_PKS5_S5_S7_jjjjjjbb,@object ; @__PRETTY_FUNCTION__._ZN10amd_detail9transformIifLb1ELb1ELb1ELj16ELj16ELj4EEEvPT_PKS1_S4_T0_PKS5_S5_S7_jjjjjjbb
__PRETTY_FUNCTION__._ZN10amd_detail9transformIifLb1ELb1ELb1ELj16ELj16ELj4EEEvPT_PKS1_S4_T0_PKS5_S5_S7_jjjjjjbb:
	.asciz	"void amd_detail::transform(DType *, const DType *, const DType *, ScaleType, const ScaleType *, ScaleType, const ScaleType *, uint32_t, uint32_t, uint32_t, uint32_t, uint32_t, uint32_t, bool, bool) [DType = int, ScaleType = float, RowMajA = true, RowMajB = true, RowMajC = true, NumThreadsM = 16U, NumThreadsN = 16U, VectorWidth = 4U]"
	.size	__PRETTY_FUNCTION__._ZN10amd_detail9transformIifLb1ELb1ELb1ELj16ELj16ELj4EEEvPT_PKS1_S4_T0_PKS5_S5_S7_jjjjjjbb, 335

	.type	__PRETTY_FUNCTION__._ZN10amd_detail9transformIifLb1ELb1ELb0ELj16ELj16ELj1EEEvPT_PKS1_S4_T0_PKS5_S5_S7_jjjjjjbb,@object ; @__PRETTY_FUNCTION__._ZN10amd_detail9transformIifLb1ELb1ELb0ELj16ELj16ELj1EEEvPT_PKS1_S4_T0_PKS5_S5_S7_jjjjjjbb
__PRETTY_FUNCTION__._ZN10amd_detail9transformIifLb1ELb1ELb0ELj16ELj16ELj1EEEvPT_PKS1_S4_T0_PKS5_S5_S7_jjjjjjbb:
	.asciz	"void amd_detail::transform(DType *, const DType *, const DType *, ScaleType, const ScaleType *, ScaleType, const ScaleType *, uint32_t, uint32_t, uint32_t, uint32_t, uint32_t, uint32_t, bool, bool) [DType = int, ScaleType = float, RowMajA = true, RowMajB = true, RowMajC = false, NumThreadsM = 16U, NumThreadsN = 16U, VectorWidth = 1U]"
	.size	__PRETTY_FUNCTION__._ZN10amd_detail9transformIifLb1ELb1ELb0ELj16ELj16ELj1EEEvPT_PKS1_S4_T0_PKS5_S5_S7_jjjjjjbb, 336

	.type	__PRETTY_FUNCTION__._ZN10amd_detail9transformIifLb1ELb1ELb0ELj16ELj16ELj4EEEvPT_PKS1_S4_T0_PKS5_S5_S7_jjjjjjbb,@object ; @__PRETTY_FUNCTION__._ZN10amd_detail9transformIifLb1ELb1ELb0ELj16ELj16ELj4EEEvPT_PKS1_S4_T0_PKS5_S5_S7_jjjjjjbb
__PRETTY_FUNCTION__._ZN10amd_detail9transformIifLb1ELb1ELb0ELj16ELj16ELj4EEEvPT_PKS1_S4_T0_PKS5_S5_S7_jjjjjjbb:
	.asciz	"void amd_detail::transform(DType *, const DType *, const DType *, ScaleType, const ScaleType *, ScaleType, const ScaleType *, uint32_t, uint32_t, uint32_t, uint32_t, uint32_t, uint32_t, bool, bool) [DType = int, ScaleType = float, RowMajA = true, RowMajB = true, RowMajC = false, NumThreadsM = 16U, NumThreadsN = 16U, VectorWidth = 4U]"
	.size	__PRETTY_FUNCTION__._ZN10amd_detail9transformIifLb1ELb1ELb0ELj16ELj16ELj4EEEvPT_PKS1_S4_T0_PKS5_S5_S7_jjjjjjbb, 336

	.type	__PRETTY_FUNCTION__._ZN10amd_detail9transformIifLb1ELb0ELb1ELj16ELj16ELj1EEEvPT_PKS1_S4_T0_PKS5_S5_S7_jjjjjjbb,@object ; @__PRETTY_FUNCTION__._ZN10amd_detail9transformIifLb1ELb0ELb1ELj16ELj16ELj1EEEvPT_PKS1_S4_T0_PKS5_S5_S7_jjjjjjbb
__PRETTY_FUNCTION__._ZN10amd_detail9transformIifLb1ELb0ELb1ELj16ELj16ELj1EEEvPT_PKS1_S4_T0_PKS5_S5_S7_jjjjjjbb:
	.asciz	"void amd_detail::transform(DType *, const DType *, const DType *, ScaleType, const ScaleType *, ScaleType, const ScaleType *, uint32_t, uint32_t, uint32_t, uint32_t, uint32_t, uint32_t, bool, bool) [DType = int, ScaleType = float, RowMajA = true, RowMajB = false, RowMajC = true, NumThreadsM = 16U, NumThreadsN = 16U, VectorWidth = 1U]"
	.size	__PRETTY_FUNCTION__._ZN10amd_detail9transformIifLb1ELb0ELb1ELj16ELj16ELj1EEEvPT_PKS1_S4_T0_PKS5_S5_S7_jjjjjjbb, 336

	.type	__PRETTY_FUNCTION__._ZN10amd_detail9transformIifLb1ELb0ELb1ELj16ELj16ELj4EEEvPT_PKS1_S4_T0_PKS5_S5_S7_jjjjjjbb,@object ; @__PRETTY_FUNCTION__._ZN10amd_detail9transformIifLb1ELb0ELb1ELj16ELj16ELj4EEEvPT_PKS1_S4_T0_PKS5_S5_S7_jjjjjjbb
__PRETTY_FUNCTION__._ZN10amd_detail9transformIifLb1ELb0ELb1ELj16ELj16ELj4EEEvPT_PKS1_S4_T0_PKS5_S5_S7_jjjjjjbb:
	.asciz	"void amd_detail::transform(DType *, const DType *, const DType *, ScaleType, const ScaleType *, ScaleType, const ScaleType *, uint32_t, uint32_t, uint32_t, uint32_t, uint32_t, uint32_t, bool, bool) [DType = int, ScaleType = float, RowMajA = true, RowMajB = false, RowMajC = true, NumThreadsM = 16U, NumThreadsN = 16U, VectorWidth = 4U]"
	.size	__PRETTY_FUNCTION__._ZN10amd_detail9transformIifLb1ELb0ELb1ELj16ELj16ELj4EEEvPT_PKS1_S4_T0_PKS5_S5_S7_jjjjjjbb, 336

	.type	__PRETTY_FUNCTION__._ZN10amd_detail9transformIifLb1ELb0ELb0ELj16ELj16ELj1EEEvPT_PKS1_S4_T0_PKS5_S5_S7_jjjjjjbb,@object ; @__PRETTY_FUNCTION__._ZN10amd_detail9transformIifLb1ELb0ELb0ELj16ELj16ELj1EEEvPT_PKS1_S4_T0_PKS5_S5_S7_jjjjjjbb
__PRETTY_FUNCTION__._ZN10amd_detail9transformIifLb1ELb0ELb0ELj16ELj16ELj1EEEvPT_PKS1_S4_T0_PKS5_S5_S7_jjjjjjbb:
	.asciz	"void amd_detail::transform(DType *, const DType *, const DType *, ScaleType, const ScaleType *, ScaleType, const ScaleType *, uint32_t, uint32_t, uint32_t, uint32_t, uint32_t, uint32_t, bool, bool) [DType = int, ScaleType = float, RowMajA = true, RowMajB = false, RowMajC = false, NumThreadsM = 16U, NumThreadsN = 16U, VectorWidth = 1U]"
	.size	__PRETTY_FUNCTION__._ZN10amd_detail9transformIifLb1ELb0ELb0ELj16ELj16ELj1EEEvPT_PKS1_S4_T0_PKS5_S5_S7_jjjjjjbb, 337

	.type	__PRETTY_FUNCTION__._ZN10amd_detail9transformIifLb1ELb0ELb0ELj16ELj16ELj4EEEvPT_PKS1_S4_T0_PKS5_S5_S7_jjjjjjbb,@object ; @__PRETTY_FUNCTION__._ZN10amd_detail9transformIifLb1ELb0ELb0ELj16ELj16ELj4EEEvPT_PKS1_S4_T0_PKS5_S5_S7_jjjjjjbb
__PRETTY_FUNCTION__._ZN10amd_detail9transformIifLb1ELb0ELb0ELj16ELj16ELj4EEEvPT_PKS1_S4_T0_PKS5_S5_S7_jjjjjjbb:
	.asciz	"void amd_detail::transform(DType *, const DType *, const DType *, ScaleType, const ScaleType *, ScaleType, const ScaleType *, uint32_t, uint32_t, uint32_t, uint32_t, uint32_t, uint32_t, bool, bool) [DType = int, ScaleType = float, RowMajA = true, RowMajB = false, RowMajC = false, NumThreadsM = 16U, NumThreadsN = 16U, VectorWidth = 4U]"
	.size	__PRETTY_FUNCTION__._ZN10amd_detail9transformIifLb1ELb0ELb0ELj16ELj16ELj4EEEvPT_PKS1_S4_T0_PKS5_S5_S7_jjjjjjbb, 337

	.type	__PRETTY_FUNCTION__._ZN10amd_detail9transformIifLb0ELb1ELb1ELj16ELj16ELj1EEEvPT_PKS1_S4_T0_PKS5_S5_S7_jjjjjjbb,@object ; @__PRETTY_FUNCTION__._ZN10amd_detail9transformIifLb0ELb1ELb1ELj16ELj16ELj1EEEvPT_PKS1_S4_T0_PKS5_S5_S7_jjjjjjbb
__PRETTY_FUNCTION__._ZN10amd_detail9transformIifLb0ELb1ELb1ELj16ELj16ELj1EEEvPT_PKS1_S4_T0_PKS5_S5_S7_jjjjjjbb:
	.asciz	"void amd_detail::transform(DType *, const DType *, const DType *, ScaleType, const ScaleType *, ScaleType, const ScaleType *, uint32_t, uint32_t, uint32_t, uint32_t, uint32_t, uint32_t, bool, bool) [DType = int, ScaleType = float, RowMajA = false, RowMajB = true, RowMajC = true, NumThreadsM = 16U, NumThreadsN = 16U, VectorWidth = 1U]"
	.size	__PRETTY_FUNCTION__._ZN10amd_detail9transformIifLb0ELb1ELb1ELj16ELj16ELj1EEEvPT_PKS1_S4_T0_PKS5_S5_S7_jjjjjjbb, 336

	.type	__PRETTY_FUNCTION__._ZN10amd_detail9transformIifLb0ELb1ELb1ELj16ELj16ELj4EEEvPT_PKS1_S4_T0_PKS5_S5_S7_jjjjjjbb,@object ; @__PRETTY_FUNCTION__._ZN10amd_detail9transformIifLb0ELb1ELb1ELj16ELj16ELj4EEEvPT_PKS1_S4_T0_PKS5_S5_S7_jjjjjjbb
__PRETTY_FUNCTION__._ZN10amd_detail9transformIifLb0ELb1ELb1ELj16ELj16ELj4EEEvPT_PKS1_S4_T0_PKS5_S5_S7_jjjjjjbb:
	.asciz	"void amd_detail::transform(DType *, const DType *, const DType *, ScaleType, const ScaleType *, ScaleType, const ScaleType *, uint32_t, uint32_t, uint32_t, uint32_t, uint32_t, uint32_t, bool, bool) [DType = int, ScaleType = float, RowMajA = false, RowMajB = true, RowMajC = true, NumThreadsM = 16U, NumThreadsN = 16U, VectorWidth = 4U]"
	.size	__PRETTY_FUNCTION__._ZN10amd_detail9transformIifLb0ELb1ELb1ELj16ELj16ELj4EEEvPT_PKS1_S4_T0_PKS5_S5_S7_jjjjjjbb, 336

	.type	__PRETTY_FUNCTION__._ZN10amd_detail9transformIifLb0ELb1ELb0ELj16ELj16ELj1EEEvPT_PKS1_S4_T0_PKS5_S5_S7_jjjjjjbb,@object ; @__PRETTY_FUNCTION__._ZN10amd_detail9transformIifLb0ELb1ELb0ELj16ELj16ELj1EEEvPT_PKS1_S4_T0_PKS5_S5_S7_jjjjjjbb
__PRETTY_FUNCTION__._ZN10amd_detail9transformIifLb0ELb1ELb0ELj16ELj16ELj1EEEvPT_PKS1_S4_T0_PKS5_S5_S7_jjjjjjbb:
	.asciz	"void amd_detail::transform(DType *, const DType *, const DType *, ScaleType, const ScaleType *, ScaleType, const ScaleType *, uint32_t, uint32_t, uint32_t, uint32_t, uint32_t, uint32_t, bool, bool) [DType = int, ScaleType = float, RowMajA = false, RowMajB = true, RowMajC = false, NumThreadsM = 16U, NumThreadsN = 16U, VectorWidth = 1U]"
	.size	__PRETTY_FUNCTION__._ZN10amd_detail9transformIifLb0ELb1ELb0ELj16ELj16ELj1EEEvPT_PKS1_S4_T0_PKS5_S5_S7_jjjjjjbb, 337

	.type	__PRETTY_FUNCTION__._ZN10amd_detail9transformIifLb0ELb1ELb0ELj16ELj16ELj4EEEvPT_PKS1_S4_T0_PKS5_S5_S7_jjjjjjbb,@object ; @__PRETTY_FUNCTION__._ZN10amd_detail9transformIifLb0ELb1ELb0ELj16ELj16ELj4EEEvPT_PKS1_S4_T0_PKS5_S5_S7_jjjjjjbb
__PRETTY_FUNCTION__._ZN10amd_detail9transformIifLb0ELb1ELb0ELj16ELj16ELj4EEEvPT_PKS1_S4_T0_PKS5_S5_S7_jjjjjjbb:
	.asciz	"void amd_detail::transform(DType *, const DType *, const DType *, ScaleType, const ScaleType *, ScaleType, const ScaleType *, uint32_t, uint32_t, uint32_t, uint32_t, uint32_t, uint32_t, bool, bool) [DType = int, ScaleType = float, RowMajA = false, RowMajB = true, RowMajC = false, NumThreadsM = 16U, NumThreadsN = 16U, VectorWidth = 4U]"
	.size	__PRETTY_FUNCTION__._ZN10amd_detail9transformIifLb0ELb1ELb0ELj16ELj16ELj4EEEvPT_PKS1_S4_T0_PKS5_S5_S7_jjjjjjbb, 337

	.type	__PRETTY_FUNCTION__._ZN10amd_detail9transformIifLb0ELb0ELb1ELj16ELj16ELj1EEEvPT_PKS1_S4_T0_PKS5_S5_S7_jjjjjjbb,@object ; @__PRETTY_FUNCTION__._ZN10amd_detail9transformIifLb0ELb0ELb1ELj16ELj16ELj1EEEvPT_PKS1_S4_T0_PKS5_S5_S7_jjjjjjbb
__PRETTY_FUNCTION__._ZN10amd_detail9transformIifLb0ELb0ELb1ELj16ELj16ELj1EEEvPT_PKS1_S4_T0_PKS5_S5_S7_jjjjjjbb:
	.asciz	"void amd_detail::transform(DType *, const DType *, const DType *, ScaleType, const ScaleType *, ScaleType, const ScaleType *, uint32_t, uint32_t, uint32_t, uint32_t, uint32_t, uint32_t, bool, bool) [DType = int, ScaleType = float, RowMajA = false, RowMajB = false, RowMajC = true, NumThreadsM = 16U, NumThreadsN = 16U, VectorWidth = 1U]"
	.size	__PRETTY_FUNCTION__._ZN10amd_detail9transformIifLb0ELb0ELb1ELj16ELj16ELj1EEEvPT_PKS1_S4_T0_PKS5_S5_S7_jjjjjjbb, 337

	.type	__PRETTY_FUNCTION__._ZN10amd_detail9transformIifLb0ELb0ELb1ELj16ELj16ELj4EEEvPT_PKS1_S4_T0_PKS5_S5_S7_jjjjjjbb,@object ; @__PRETTY_FUNCTION__._ZN10amd_detail9transformIifLb0ELb0ELb1ELj16ELj16ELj4EEEvPT_PKS1_S4_T0_PKS5_S5_S7_jjjjjjbb
__PRETTY_FUNCTION__._ZN10amd_detail9transformIifLb0ELb0ELb1ELj16ELj16ELj4EEEvPT_PKS1_S4_T0_PKS5_S5_S7_jjjjjjbb:
	.asciz	"void amd_detail::transform(DType *, const DType *, const DType *, ScaleType, const ScaleType *, ScaleType, const ScaleType *, uint32_t, uint32_t, uint32_t, uint32_t, uint32_t, uint32_t, bool, bool) [DType = int, ScaleType = float, RowMajA = false, RowMajB = false, RowMajC = true, NumThreadsM = 16U, NumThreadsN = 16U, VectorWidth = 4U]"
	.size	__PRETTY_FUNCTION__._ZN10amd_detail9transformIifLb0ELb0ELb1ELj16ELj16ELj4EEEvPT_PKS1_S4_T0_PKS5_S5_S7_jjjjjjbb, 337

	.type	__PRETTY_FUNCTION__._ZN10amd_detail9transformIifLb0ELb0ELb0ELj16ELj16ELj1EEEvPT_PKS1_S4_T0_PKS5_S5_S7_jjjjjjbb,@object ; @__PRETTY_FUNCTION__._ZN10amd_detail9transformIifLb0ELb0ELb0ELj16ELj16ELj1EEEvPT_PKS1_S4_T0_PKS5_S5_S7_jjjjjjbb
__PRETTY_FUNCTION__._ZN10amd_detail9transformIifLb0ELb0ELb0ELj16ELj16ELj1EEEvPT_PKS1_S4_T0_PKS5_S5_S7_jjjjjjbb:
	.asciz	"void amd_detail::transform(DType *, const DType *, const DType *, ScaleType, const ScaleType *, ScaleType, const ScaleType *, uint32_t, uint32_t, uint32_t, uint32_t, uint32_t, uint32_t, bool, bool) [DType = int, ScaleType = float, RowMajA = false, RowMajB = false, RowMajC = false, NumThreadsM = 16U, NumThreadsN = 16U, VectorWidth = 1U]"
	.size	__PRETTY_FUNCTION__._ZN10amd_detail9transformIifLb0ELb0ELb0ELj16ELj16ELj1EEEvPT_PKS1_S4_T0_PKS5_S5_S7_jjjjjjbb, 338

	.type	__PRETTY_FUNCTION__._ZN10amd_detail9transformIifLb0ELb0ELb0ELj16ELj16ELj4EEEvPT_PKS1_S4_T0_PKS5_S5_S7_jjjjjjbb,@object ; @__PRETTY_FUNCTION__._ZN10amd_detail9transformIifLb0ELb0ELb0ELj16ELj16ELj4EEEvPT_PKS1_S4_T0_PKS5_S5_S7_jjjjjjbb
__PRETTY_FUNCTION__._ZN10amd_detail9transformIifLb0ELb0ELb0ELj16ELj16ELj4EEEvPT_PKS1_S4_T0_PKS5_S5_S7_jjjjjjbb:
	.asciz	"void amd_detail::transform(DType *, const DType *, const DType *, ScaleType, const ScaleType *, ScaleType, const ScaleType *, uint32_t, uint32_t, uint32_t, uint32_t, uint32_t, uint32_t, bool, bool) [DType = int, ScaleType = float, RowMajA = false, RowMajB = false, RowMajC = false, NumThreadsM = 16U, NumThreadsN = 16U, VectorWidth = 4U]"
	.size	__PRETTY_FUNCTION__._ZN10amd_detail9transformIifLb0ELb0ELb0ELj16ELj16ELj4EEEvPT_PKS1_S4_T0_PKS5_S5_S7_jjjjjjbb, 338

	.type	__hip_cuid_1da7bad364b9d258,@object ; @__hip_cuid_1da7bad364b9d258
	.section	.bss,"aw",@nobits
	.globl	__hip_cuid_1da7bad364b9d258
__hip_cuid_1da7bad364b9d258:
	.byte	0                               ; 0x0
	.size	__hip_cuid_1da7bad364b9d258, 1

	.ident	"AMD clang version 22.0.0git (https://github.com/RadeonOpenCompute/llvm-project roc-7.2.4 26084 f58b06dce1f9c15707c5f808fd002e18c2accf7e)"
	.section	".note.GNU-stack","",@progbits
	.addrsig
	.addrsig_sym __hip_cuid_1da7bad364b9d258
	.amdgpu_metadata
---
amdhsa.kernels:
  - .args:
      - .address_space:  global
        .offset:         0
        .size:           8
        .value_kind:     global_buffer
      - .address_space:  global
        .offset:         8
        .size:           8
        .value_kind:     global_buffer
      - .address_space:  global
        .offset:         16
        .size:           8
        .value_kind:     global_buffer
      - .offset:         24
        .size:           4
        .value_kind:     by_value
      - .address_space:  global
        .offset:         32
        .size:           8
        .value_kind:     global_buffer
      - .offset:         40
        .size:           4
        .value_kind:     by_value
      - .address_space:  global
        .offset:         48
        .size:           8
        .value_kind:     global_buffer
      - .offset:         56
        .size:           4
        .value_kind:     by_value
      - .offset:         60
        .size:           4
        .value_kind:     by_value
      - .offset:         64
        .size:           4
        .value_kind:     by_value
      - .offset:         68
        .size:           4
        .value_kind:     by_value
      - .offset:         72
        .size:           4
        .value_kind:     by_value
      - .offset:         76
        .size:           4
        .value_kind:     by_value
      - .offset:         80
        .size:           1
        .value_kind:     by_value
      - .offset:         81
        .size:           1
        .value_kind:     by_value
      - .offset:         88
        .size:           4
        .value_kind:     hidden_block_count_x
      - .offset:         92
        .size:           4
        .value_kind:     hidden_block_count_y
      - .offset:         96
        .size:           4
        .value_kind:     hidden_block_count_z
      - .offset:         100
        .size:           2
        .value_kind:     hidden_group_size_x
      - .offset:         102
        .size:           2
        .value_kind:     hidden_group_size_y
      - .offset:         104
        .size:           2
        .value_kind:     hidden_group_size_z
      - .offset:         106
        .size:           2
        .value_kind:     hidden_remainder_x
      - .offset:         108
        .size:           2
        .value_kind:     hidden_remainder_y
      - .offset:         110
        .size:           2
        .value_kind:     hidden_remainder_z
      - .offset:         128
        .size:           8
        .value_kind:     hidden_global_offset_x
      - .offset:         136
        .size:           8
        .value_kind:     hidden_global_offset_y
      - .offset:         144
        .size:           8
        .value_kind:     hidden_global_offset_z
      - .offset:         152
        .size:           2
        .value_kind:     hidden_grid_dims
      - .offset:         168
        .size:           8
        .value_kind:     hidden_hostcall_buffer
    .group_segment_fixed_size: 0
    .kernarg_segment_align: 8
    .kernarg_segment_size: 344
    .language:       OpenCL C
    .language_version:
      - 2
      - 0
    .max_flat_workgroup_size: 1024
    .name:           Transform_S_S_111_16_16_VW_1
    .private_segment_fixed_size: 64
    .sgpr_count:     40
    .sgpr_spill_count: 0
    .symbol:         Transform_S_S_111_16_16_VW_1.kd
    .uniform_work_group_size: 1
    .uses_dynamic_stack: false
    .vgpr_count:     42
    .vgpr_spill_count: 0
    .wavefront_size: 64
  - .args:
      - .address_space:  global
        .offset:         0
        .size:           8
        .value_kind:     global_buffer
      - .address_space:  global
        .offset:         8
        .size:           8
        .value_kind:     global_buffer
      - .address_space:  global
        .offset:         16
        .size:           8
        .value_kind:     global_buffer
      - .offset:         24
        .size:           4
        .value_kind:     by_value
      - .address_space:  global
        .offset:         32
        .size:           8
        .value_kind:     global_buffer
      - .offset:         40
        .size:           4
        .value_kind:     by_value
      - .address_space:  global
        .offset:         48
        .size:           8
        .value_kind:     global_buffer
      - .offset:         56
        .size:           4
        .value_kind:     by_value
      - .offset:         60
        .size:           4
        .value_kind:     by_value
      - .offset:         64
        .size:           4
        .value_kind:     by_value
      - .offset:         68
        .size:           4
        .value_kind:     by_value
      - .offset:         72
        .size:           4
        .value_kind:     by_value
      - .offset:         76
        .size:           4
        .value_kind:     by_value
      - .offset:         80
        .size:           1
        .value_kind:     by_value
      - .offset:         81
        .size:           1
        .value_kind:     by_value
      - .offset:         88
        .size:           4
        .value_kind:     hidden_block_count_x
      - .offset:         92
        .size:           4
        .value_kind:     hidden_block_count_y
      - .offset:         96
        .size:           4
        .value_kind:     hidden_block_count_z
      - .offset:         100
        .size:           2
        .value_kind:     hidden_group_size_x
      - .offset:         102
        .size:           2
        .value_kind:     hidden_group_size_y
      - .offset:         104
        .size:           2
        .value_kind:     hidden_group_size_z
      - .offset:         106
        .size:           2
        .value_kind:     hidden_remainder_x
      - .offset:         108
        .size:           2
        .value_kind:     hidden_remainder_y
      - .offset:         110
        .size:           2
        .value_kind:     hidden_remainder_z
      - .offset:         128
        .size:           8
        .value_kind:     hidden_global_offset_x
      - .offset:         136
        .size:           8
        .value_kind:     hidden_global_offset_y
      - .offset:         144
        .size:           8
        .value_kind:     hidden_global_offset_z
      - .offset:         152
        .size:           2
        .value_kind:     hidden_grid_dims
      - .offset:         168
        .size:           8
        .value_kind:     hidden_hostcall_buffer
    .group_segment_fixed_size: 16384
    .kernarg_segment_align: 8
    .kernarg_segment_size: 344
    .language:       OpenCL C
    .language_version:
      - 2
      - 0
    .max_flat_workgroup_size: 1024
    .name:           Transform_S_S_111_16_16_VW_4
    .private_segment_fixed_size: 64
    .sgpr_count:     42
    .sgpr_spill_count: 0
    .symbol:         Transform_S_S_111_16_16_VW_4.kd
    .uniform_work_group_size: 1
    .uses_dynamic_stack: false
    .vgpr_count:     44
    .vgpr_spill_count: 0
    .wavefront_size: 64
  - .args:
      - .address_space:  global
        .offset:         0
        .size:           8
        .value_kind:     global_buffer
      - .address_space:  global
        .offset:         8
        .size:           8
        .value_kind:     global_buffer
      - .address_space:  global
        .offset:         16
        .size:           8
        .value_kind:     global_buffer
      - .offset:         24
        .size:           4
        .value_kind:     by_value
      - .address_space:  global
        .offset:         32
        .size:           8
        .value_kind:     global_buffer
      - .offset:         40
        .size:           4
        .value_kind:     by_value
      - .address_space:  global
        .offset:         48
        .size:           8
        .value_kind:     global_buffer
      - .offset:         56
        .size:           4
        .value_kind:     by_value
      - .offset:         60
        .size:           4
        .value_kind:     by_value
      - .offset:         64
        .size:           4
        .value_kind:     by_value
      - .offset:         68
        .size:           4
        .value_kind:     by_value
      - .offset:         72
        .size:           4
        .value_kind:     by_value
      - .offset:         76
        .size:           4
        .value_kind:     by_value
      - .offset:         80
        .size:           1
        .value_kind:     by_value
      - .offset:         81
        .size:           1
        .value_kind:     by_value
      - .offset:         88
        .size:           4
        .value_kind:     hidden_block_count_x
      - .offset:         92
        .size:           4
        .value_kind:     hidden_block_count_y
      - .offset:         96
        .size:           4
        .value_kind:     hidden_block_count_z
      - .offset:         100
        .size:           2
        .value_kind:     hidden_group_size_x
      - .offset:         102
        .size:           2
        .value_kind:     hidden_group_size_y
      - .offset:         104
        .size:           2
        .value_kind:     hidden_group_size_z
      - .offset:         106
        .size:           2
        .value_kind:     hidden_remainder_x
      - .offset:         108
        .size:           2
        .value_kind:     hidden_remainder_y
      - .offset:         110
        .size:           2
        .value_kind:     hidden_remainder_z
      - .offset:         128
        .size:           8
        .value_kind:     hidden_global_offset_x
      - .offset:         136
        .size:           8
        .value_kind:     hidden_global_offset_y
      - .offset:         144
        .size:           8
        .value_kind:     hidden_global_offset_z
      - .offset:         152
        .size:           2
        .value_kind:     hidden_grid_dims
      - .offset:         168
        .size:           8
        .value_kind:     hidden_hostcall_buffer
    .group_segment_fixed_size: 0
    .kernarg_segment_align: 8
    .kernarg_segment_size: 344
    .language:       OpenCL C
    .language_version:
      - 2
      - 0
    .max_flat_workgroup_size: 1024
    .name:           Transform_S_S_110_16_16_VW_1
    .private_segment_fixed_size: 64
    .sgpr_count:     40
    .sgpr_spill_count: 0
    .symbol:         Transform_S_S_110_16_16_VW_1.kd
    .uniform_work_group_size: 1
    .uses_dynamic_stack: false
    .vgpr_count:     42
    .vgpr_spill_count: 0
    .wavefront_size: 64
  - .args:
      - .address_space:  global
        .offset:         0
        .size:           8
        .value_kind:     global_buffer
      - .address_space:  global
        .offset:         8
        .size:           8
        .value_kind:     global_buffer
      - .address_space:  global
        .offset:         16
        .size:           8
        .value_kind:     global_buffer
      - .offset:         24
        .size:           4
        .value_kind:     by_value
      - .address_space:  global
        .offset:         32
        .size:           8
        .value_kind:     global_buffer
      - .offset:         40
        .size:           4
        .value_kind:     by_value
      - .address_space:  global
        .offset:         48
        .size:           8
        .value_kind:     global_buffer
      - .offset:         56
        .size:           4
        .value_kind:     by_value
      - .offset:         60
        .size:           4
        .value_kind:     by_value
      - .offset:         64
        .size:           4
        .value_kind:     by_value
      - .offset:         68
        .size:           4
        .value_kind:     by_value
      - .offset:         72
        .size:           4
        .value_kind:     by_value
      - .offset:         76
        .size:           4
        .value_kind:     by_value
      - .offset:         80
        .size:           1
        .value_kind:     by_value
      - .offset:         81
        .size:           1
        .value_kind:     by_value
      - .offset:         88
        .size:           4
        .value_kind:     hidden_block_count_x
      - .offset:         92
        .size:           4
        .value_kind:     hidden_block_count_y
      - .offset:         96
        .size:           4
        .value_kind:     hidden_block_count_z
      - .offset:         100
        .size:           2
        .value_kind:     hidden_group_size_x
      - .offset:         102
        .size:           2
        .value_kind:     hidden_group_size_y
      - .offset:         104
        .size:           2
        .value_kind:     hidden_group_size_z
      - .offset:         106
        .size:           2
        .value_kind:     hidden_remainder_x
      - .offset:         108
        .size:           2
        .value_kind:     hidden_remainder_y
      - .offset:         110
        .size:           2
        .value_kind:     hidden_remainder_z
      - .offset:         128
        .size:           8
        .value_kind:     hidden_global_offset_x
      - .offset:         136
        .size:           8
        .value_kind:     hidden_global_offset_y
      - .offset:         144
        .size:           8
        .value_kind:     hidden_global_offset_z
      - .offset:         152
        .size:           2
        .value_kind:     hidden_grid_dims
      - .offset:         168
        .size:           8
        .value_kind:     hidden_hostcall_buffer
    .group_segment_fixed_size: 16384
    .kernarg_segment_align: 8
    .kernarg_segment_size: 344
    .language:       OpenCL C
    .language_version:
      - 2
      - 0
    .max_flat_workgroup_size: 1024
    .name:           Transform_S_S_110_16_16_VW_4
    .private_segment_fixed_size: 64
    .sgpr_count:     42
    .sgpr_spill_count: 0
    .symbol:         Transform_S_S_110_16_16_VW_4.kd
    .uniform_work_group_size: 1
    .uses_dynamic_stack: false
    .vgpr_count:     44
    .vgpr_spill_count: 0
    .wavefront_size: 64
  - .args:
      - .address_space:  global
        .offset:         0
        .size:           8
        .value_kind:     global_buffer
      - .address_space:  global
        .offset:         8
        .size:           8
        .value_kind:     global_buffer
      - .address_space:  global
        .offset:         16
        .size:           8
        .value_kind:     global_buffer
      - .offset:         24
        .size:           4
        .value_kind:     by_value
      - .address_space:  global
        .offset:         32
        .size:           8
        .value_kind:     global_buffer
      - .offset:         40
        .size:           4
        .value_kind:     by_value
      - .address_space:  global
        .offset:         48
        .size:           8
        .value_kind:     global_buffer
      - .offset:         56
        .size:           4
        .value_kind:     by_value
      - .offset:         60
        .size:           4
        .value_kind:     by_value
      - .offset:         64
        .size:           4
        .value_kind:     by_value
      - .offset:         68
        .size:           4
        .value_kind:     by_value
      - .offset:         72
        .size:           4
        .value_kind:     by_value
      - .offset:         76
        .size:           4
        .value_kind:     by_value
      - .offset:         80
        .size:           1
        .value_kind:     by_value
      - .offset:         81
        .size:           1
        .value_kind:     by_value
      - .offset:         88
        .size:           4
        .value_kind:     hidden_block_count_x
      - .offset:         92
        .size:           4
        .value_kind:     hidden_block_count_y
      - .offset:         96
        .size:           4
        .value_kind:     hidden_block_count_z
      - .offset:         100
        .size:           2
        .value_kind:     hidden_group_size_x
      - .offset:         102
        .size:           2
        .value_kind:     hidden_group_size_y
      - .offset:         104
        .size:           2
        .value_kind:     hidden_group_size_z
      - .offset:         106
        .size:           2
        .value_kind:     hidden_remainder_x
      - .offset:         108
        .size:           2
        .value_kind:     hidden_remainder_y
      - .offset:         110
        .size:           2
        .value_kind:     hidden_remainder_z
      - .offset:         128
        .size:           8
        .value_kind:     hidden_global_offset_x
      - .offset:         136
        .size:           8
        .value_kind:     hidden_global_offset_y
      - .offset:         144
        .size:           8
        .value_kind:     hidden_global_offset_z
      - .offset:         152
        .size:           2
        .value_kind:     hidden_grid_dims
      - .offset:         168
        .size:           8
        .value_kind:     hidden_hostcall_buffer
    .group_segment_fixed_size: 0
    .kernarg_segment_align: 8
    .kernarg_segment_size: 344
    .language:       OpenCL C
    .language_version:
      - 2
      - 0
    .max_flat_workgroup_size: 1024
    .name:           Transform_S_S_101_16_16_VW_1
    .private_segment_fixed_size: 64
    .sgpr_count:     40
    .sgpr_spill_count: 0
    .symbol:         Transform_S_S_101_16_16_VW_1.kd
    .uniform_work_group_size: 1
    .uses_dynamic_stack: false
    .vgpr_count:     42
    .vgpr_spill_count: 0
    .wavefront_size: 64
  - .args:
      - .address_space:  global
        .offset:         0
        .size:           8
        .value_kind:     global_buffer
      - .address_space:  global
        .offset:         8
        .size:           8
        .value_kind:     global_buffer
      - .address_space:  global
        .offset:         16
        .size:           8
        .value_kind:     global_buffer
      - .offset:         24
        .size:           4
        .value_kind:     by_value
      - .address_space:  global
        .offset:         32
        .size:           8
        .value_kind:     global_buffer
      - .offset:         40
        .size:           4
        .value_kind:     by_value
      - .address_space:  global
        .offset:         48
        .size:           8
        .value_kind:     global_buffer
      - .offset:         56
        .size:           4
        .value_kind:     by_value
      - .offset:         60
        .size:           4
        .value_kind:     by_value
      - .offset:         64
        .size:           4
        .value_kind:     by_value
      - .offset:         68
        .size:           4
        .value_kind:     by_value
      - .offset:         72
        .size:           4
        .value_kind:     by_value
      - .offset:         76
        .size:           4
        .value_kind:     by_value
      - .offset:         80
        .size:           1
        .value_kind:     by_value
      - .offset:         81
        .size:           1
        .value_kind:     by_value
      - .offset:         88
        .size:           4
        .value_kind:     hidden_block_count_x
      - .offset:         92
        .size:           4
        .value_kind:     hidden_block_count_y
      - .offset:         96
        .size:           4
        .value_kind:     hidden_block_count_z
      - .offset:         100
        .size:           2
        .value_kind:     hidden_group_size_x
      - .offset:         102
        .size:           2
        .value_kind:     hidden_group_size_y
      - .offset:         104
        .size:           2
        .value_kind:     hidden_group_size_z
      - .offset:         106
        .size:           2
        .value_kind:     hidden_remainder_x
      - .offset:         108
        .size:           2
        .value_kind:     hidden_remainder_y
      - .offset:         110
        .size:           2
        .value_kind:     hidden_remainder_z
      - .offset:         128
        .size:           8
        .value_kind:     hidden_global_offset_x
      - .offset:         136
        .size:           8
        .value_kind:     hidden_global_offset_y
      - .offset:         144
        .size:           8
        .value_kind:     hidden_global_offset_z
      - .offset:         152
        .size:           2
        .value_kind:     hidden_grid_dims
      - .offset:         168
        .size:           8
        .value_kind:     hidden_hostcall_buffer
    .group_segment_fixed_size: 16384
    .kernarg_segment_align: 8
    .kernarg_segment_size: 344
    .language:       OpenCL C
    .language_version:
      - 2
      - 0
    .max_flat_workgroup_size: 1024
    .name:           Transform_S_S_101_16_16_VW_4
    .private_segment_fixed_size: 64
    .sgpr_count:     42
    .sgpr_spill_count: 0
    .symbol:         Transform_S_S_101_16_16_VW_4.kd
    .uniform_work_group_size: 1
    .uses_dynamic_stack: false
    .vgpr_count:     44
    .vgpr_spill_count: 0
    .wavefront_size: 64
  - .args:
      - .address_space:  global
        .offset:         0
        .size:           8
        .value_kind:     global_buffer
      - .address_space:  global
        .offset:         8
        .size:           8
        .value_kind:     global_buffer
      - .address_space:  global
        .offset:         16
        .size:           8
        .value_kind:     global_buffer
      - .offset:         24
        .size:           4
        .value_kind:     by_value
      - .address_space:  global
        .offset:         32
        .size:           8
        .value_kind:     global_buffer
      - .offset:         40
        .size:           4
        .value_kind:     by_value
      - .address_space:  global
        .offset:         48
        .size:           8
        .value_kind:     global_buffer
      - .offset:         56
        .size:           4
        .value_kind:     by_value
      - .offset:         60
        .size:           4
        .value_kind:     by_value
      - .offset:         64
        .size:           4
        .value_kind:     by_value
      - .offset:         68
        .size:           4
        .value_kind:     by_value
      - .offset:         72
        .size:           4
        .value_kind:     by_value
      - .offset:         76
        .size:           4
        .value_kind:     by_value
      - .offset:         80
        .size:           1
        .value_kind:     by_value
      - .offset:         81
        .size:           1
        .value_kind:     by_value
      - .offset:         88
        .size:           4
        .value_kind:     hidden_block_count_x
      - .offset:         92
        .size:           4
        .value_kind:     hidden_block_count_y
      - .offset:         96
        .size:           4
        .value_kind:     hidden_block_count_z
      - .offset:         100
        .size:           2
        .value_kind:     hidden_group_size_x
      - .offset:         102
        .size:           2
        .value_kind:     hidden_group_size_y
      - .offset:         104
        .size:           2
        .value_kind:     hidden_group_size_z
      - .offset:         106
        .size:           2
        .value_kind:     hidden_remainder_x
      - .offset:         108
        .size:           2
        .value_kind:     hidden_remainder_y
      - .offset:         110
        .size:           2
        .value_kind:     hidden_remainder_z
      - .offset:         128
        .size:           8
        .value_kind:     hidden_global_offset_x
      - .offset:         136
        .size:           8
        .value_kind:     hidden_global_offset_y
      - .offset:         144
        .size:           8
        .value_kind:     hidden_global_offset_z
      - .offset:         152
        .size:           2
        .value_kind:     hidden_grid_dims
      - .offset:         168
        .size:           8
        .value_kind:     hidden_hostcall_buffer
    .group_segment_fixed_size: 0
    .kernarg_segment_align: 8
    .kernarg_segment_size: 344
    .language:       OpenCL C
    .language_version:
      - 2
      - 0
    .max_flat_workgroup_size: 1024
    .name:           Transform_S_S_100_16_16_VW_1
    .private_segment_fixed_size: 64
    .sgpr_count:     40
    .sgpr_spill_count: 0
    .symbol:         Transform_S_S_100_16_16_VW_1.kd
    .uniform_work_group_size: 1
    .uses_dynamic_stack: false
    .vgpr_count:     42
    .vgpr_spill_count: 0
    .wavefront_size: 64
  - .args:
      - .address_space:  global
        .offset:         0
        .size:           8
        .value_kind:     global_buffer
      - .address_space:  global
        .offset:         8
        .size:           8
        .value_kind:     global_buffer
      - .address_space:  global
        .offset:         16
        .size:           8
        .value_kind:     global_buffer
      - .offset:         24
        .size:           4
        .value_kind:     by_value
      - .address_space:  global
        .offset:         32
        .size:           8
        .value_kind:     global_buffer
      - .offset:         40
        .size:           4
        .value_kind:     by_value
      - .address_space:  global
        .offset:         48
        .size:           8
        .value_kind:     global_buffer
      - .offset:         56
        .size:           4
        .value_kind:     by_value
      - .offset:         60
        .size:           4
        .value_kind:     by_value
      - .offset:         64
        .size:           4
        .value_kind:     by_value
      - .offset:         68
        .size:           4
        .value_kind:     by_value
      - .offset:         72
        .size:           4
        .value_kind:     by_value
      - .offset:         76
        .size:           4
        .value_kind:     by_value
      - .offset:         80
        .size:           1
        .value_kind:     by_value
      - .offset:         81
        .size:           1
        .value_kind:     by_value
      - .offset:         88
        .size:           4
        .value_kind:     hidden_block_count_x
      - .offset:         92
        .size:           4
        .value_kind:     hidden_block_count_y
      - .offset:         96
        .size:           4
        .value_kind:     hidden_block_count_z
      - .offset:         100
        .size:           2
        .value_kind:     hidden_group_size_x
      - .offset:         102
        .size:           2
        .value_kind:     hidden_group_size_y
      - .offset:         104
        .size:           2
        .value_kind:     hidden_group_size_z
      - .offset:         106
        .size:           2
        .value_kind:     hidden_remainder_x
      - .offset:         108
        .size:           2
        .value_kind:     hidden_remainder_y
      - .offset:         110
        .size:           2
        .value_kind:     hidden_remainder_z
      - .offset:         128
        .size:           8
        .value_kind:     hidden_global_offset_x
      - .offset:         136
        .size:           8
        .value_kind:     hidden_global_offset_y
      - .offset:         144
        .size:           8
        .value_kind:     hidden_global_offset_z
      - .offset:         152
        .size:           2
        .value_kind:     hidden_grid_dims
      - .offset:         168
        .size:           8
        .value_kind:     hidden_hostcall_buffer
    .group_segment_fixed_size: 16384
    .kernarg_segment_align: 8
    .kernarg_segment_size: 344
    .language:       OpenCL C
    .language_version:
      - 2
      - 0
    .max_flat_workgroup_size: 1024
    .name:           Transform_S_S_100_16_16_VW_4
    .private_segment_fixed_size: 64
    .sgpr_count:     42
    .sgpr_spill_count: 0
    .symbol:         Transform_S_S_100_16_16_VW_4.kd
    .uniform_work_group_size: 1
    .uses_dynamic_stack: false
    .vgpr_count:     44
    .vgpr_spill_count: 0
    .wavefront_size: 64
  - .args:
      - .address_space:  global
        .offset:         0
        .size:           8
        .value_kind:     global_buffer
      - .address_space:  global
        .offset:         8
        .size:           8
        .value_kind:     global_buffer
      - .address_space:  global
        .offset:         16
        .size:           8
        .value_kind:     global_buffer
      - .offset:         24
        .size:           4
        .value_kind:     by_value
      - .address_space:  global
        .offset:         32
        .size:           8
        .value_kind:     global_buffer
      - .offset:         40
        .size:           4
        .value_kind:     by_value
      - .address_space:  global
        .offset:         48
        .size:           8
        .value_kind:     global_buffer
      - .offset:         56
        .size:           4
        .value_kind:     by_value
      - .offset:         60
        .size:           4
        .value_kind:     by_value
      - .offset:         64
        .size:           4
        .value_kind:     by_value
      - .offset:         68
        .size:           4
        .value_kind:     by_value
      - .offset:         72
        .size:           4
        .value_kind:     by_value
      - .offset:         76
        .size:           4
        .value_kind:     by_value
      - .offset:         80
        .size:           1
        .value_kind:     by_value
      - .offset:         81
        .size:           1
        .value_kind:     by_value
      - .offset:         88
        .size:           4
        .value_kind:     hidden_block_count_x
      - .offset:         92
        .size:           4
        .value_kind:     hidden_block_count_y
      - .offset:         96
        .size:           4
        .value_kind:     hidden_block_count_z
      - .offset:         100
        .size:           2
        .value_kind:     hidden_group_size_x
      - .offset:         102
        .size:           2
        .value_kind:     hidden_group_size_y
      - .offset:         104
        .size:           2
        .value_kind:     hidden_group_size_z
      - .offset:         106
        .size:           2
        .value_kind:     hidden_remainder_x
      - .offset:         108
        .size:           2
        .value_kind:     hidden_remainder_y
      - .offset:         110
        .size:           2
        .value_kind:     hidden_remainder_z
      - .offset:         128
        .size:           8
        .value_kind:     hidden_global_offset_x
      - .offset:         136
        .size:           8
        .value_kind:     hidden_global_offset_y
      - .offset:         144
        .size:           8
        .value_kind:     hidden_global_offset_z
      - .offset:         152
        .size:           2
        .value_kind:     hidden_grid_dims
      - .offset:         168
        .size:           8
        .value_kind:     hidden_hostcall_buffer
    .group_segment_fixed_size: 0
    .kernarg_segment_align: 8
    .kernarg_segment_size: 344
    .language:       OpenCL C
    .language_version:
      - 2
      - 0
    .max_flat_workgroup_size: 1024
    .name:           Transform_S_S_011_16_16_VW_1
    .private_segment_fixed_size: 64
    .sgpr_count:     40
    .sgpr_spill_count: 0
    .symbol:         Transform_S_S_011_16_16_VW_1.kd
    .uniform_work_group_size: 1
    .uses_dynamic_stack: false
    .vgpr_count:     42
    .vgpr_spill_count: 0
    .wavefront_size: 64
  - .args:
      - .address_space:  global
        .offset:         0
        .size:           8
        .value_kind:     global_buffer
      - .address_space:  global
        .offset:         8
        .size:           8
        .value_kind:     global_buffer
      - .address_space:  global
        .offset:         16
        .size:           8
        .value_kind:     global_buffer
      - .offset:         24
        .size:           4
        .value_kind:     by_value
      - .address_space:  global
        .offset:         32
        .size:           8
        .value_kind:     global_buffer
      - .offset:         40
        .size:           4
        .value_kind:     by_value
      - .address_space:  global
        .offset:         48
        .size:           8
        .value_kind:     global_buffer
      - .offset:         56
        .size:           4
        .value_kind:     by_value
      - .offset:         60
        .size:           4
        .value_kind:     by_value
      - .offset:         64
        .size:           4
        .value_kind:     by_value
      - .offset:         68
        .size:           4
        .value_kind:     by_value
      - .offset:         72
        .size:           4
        .value_kind:     by_value
      - .offset:         76
        .size:           4
        .value_kind:     by_value
      - .offset:         80
        .size:           1
        .value_kind:     by_value
      - .offset:         81
        .size:           1
        .value_kind:     by_value
      - .offset:         88
        .size:           4
        .value_kind:     hidden_block_count_x
      - .offset:         92
        .size:           4
        .value_kind:     hidden_block_count_y
      - .offset:         96
        .size:           4
        .value_kind:     hidden_block_count_z
      - .offset:         100
        .size:           2
        .value_kind:     hidden_group_size_x
      - .offset:         102
        .size:           2
        .value_kind:     hidden_group_size_y
      - .offset:         104
        .size:           2
        .value_kind:     hidden_group_size_z
      - .offset:         106
        .size:           2
        .value_kind:     hidden_remainder_x
      - .offset:         108
        .size:           2
        .value_kind:     hidden_remainder_y
      - .offset:         110
        .size:           2
        .value_kind:     hidden_remainder_z
      - .offset:         128
        .size:           8
        .value_kind:     hidden_global_offset_x
      - .offset:         136
        .size:           8
        .value_kind:     hidden_global_offset_y
      - .offset:         144
        .size:           8
        .value_kind:     hidden_global_offset_z
      - .offset:         152
        .size:           2
        .value_kind:     hidden_grid_dims
      - .offset:         168
        .size:           8
        .value_kind:     hidden_hostcall_buffer
    .group_segment_fixed_size: 16384
    .kernarg_segment_align: 8
    .kernarg_segment_size: 344
    .language:       OpenCL C
    .language_version:
      - 2
      - 0
    .max_flat_workgroup_size: 1024
    .name:           Transform_S_S_011_16_16_VW_4
    .private_segment_fixed_size: 64
    .sgpr_count:     42
    .sgpr_spill_count: 0
    .symbol:         Transform_S_S_011_16_16_VW_4.kd
    .uniform_work_group_size: 1
    .uses_dynamic_stack: false
    .vgpr_count:     44
    .vgpr_spill_count: 0
    .wavefront_size: 64
  - .args:
      - .address_space:  global
        .offset:         0
        .size:           8
        .value_kind:     global_buffer
      - .address_space:  global
        .offset:         8
        .size:           8
        .value_kind:     global_buffer
      - .address_space:  global
        .offset:         16
        .size:           8
        .value_kind:     global_buffer
      - .offset:         24
        .size:           4
        .value_kind:     by_value
      - .address_space:  global
        .offset:         32
        .size:           8
        .value_kind:     global_buffer
      - .offset:         40
        .size:           4
        .value_kind:     by_value
      - .address_space:  global
        .offset:         48
        .size:           8
        .value_kind:     global_buffer
      - .offset:         56
        .size:           4
        .value_kind:     by_value
      - .offset:         60
        .size:           4
        .value_kind:     by_value
      - .offset:         64
        .size:           4
        .value_kind:     by_value
      - .offset:         68
        .size:           4
        .value_kind:     by_value
      - .offset:         72
        .size:           4
        .value_kind:     by_value
      - .offset:         76
        .size:           4
        .value_kind:     by_value
      - .offset:         80
        .size:           1
        .value_kind:     by_value
      - .offset:         81
        .size:           1
        .value_kind:     by_value
      - .offset:         88
        .size:           4
        .value_kind:     hidden_block_count_x
      - .offset:         92
        .size:           4
        .value_kind:     hidden_block_count_y
      - .offset:         96
        .size:           4
        .value_kind:     hidden_block_count_z
      - .offset:         100
        .size:           2
        .value_kind:     hidden_group_size_x
      - .offset:         102
        .size:           2
        .value_kind:     hidden_group_size_y
      - .offset:         104
        .size:           2
        .value_kind:     hidden_group_size_z
      - .offset:         106
        .size:           2
        .value_kind:     hidden_remainder_x
      - .offset:         108
        .size:           2
        .value_kind:     hidden_remainder_y
      - .offset:         110
        .size:           2
        .value_kind:     hidden_remainder_z
      - .offset:         128
        .size:           8
        .value_kind:     hidden_global_offset_x
      - .offset:         136
        .size:           8
        .value_kind:     hidden_global_offset_y
      - .offset:         144
        .size:           8
        .value_kind:     hidden_global_offset_z
      - .offset:         152
        .size:           2
        .value_kind:     hidden_grid_dims
      - .offset:         168
        .size:           8
        .value_kind:     hidden_hostcall_buffer
    .group_segment_fixed_size: 0
    .kernarg_segment_align: 8
    .kernarg_segment_size: 344
    .language:       OpenCL C
    .language_version:
      - 2
      - 0
    .max_flat_workgroup_size: 1024
    .name:           Transform_S_S_010_16_16_VW_1
    .private_segment_fixed_size: 64
    .sgpr_count:     40
    .sgpr_spill_count: 0
    .symbol:         Transform_S_S_010_16_16_VW_1.kd
    .uniform_work_group_size: 1
    .uses_dynamic_stack: false
    .vgpr_count:     42
    .vgpr_spill_count: 0
    .wavefront_size: 64
  - .args:
      - .address_space:  global
        .offset:         0
        .size:           8
        .value_kind:     global_buffer
      - .address_space:  global
        .offset:         8
        .size:           8
        .value_kind:     global_buffer
      - .address_space:  global
        .offset:         16
        .size:           8
        .value_kind:     global_buffer
      - .offset:         24
        .size:           4
        .value_kind:     by_value
      - .address_space:  global
        .offset:         32
        .size:           8
        .value_kind:     global_buffer
      - .offset:         40
        .size:           4
        .value_kind:     by_value
      - .address_space:  global
        .offset:         48
        .size:           8
        .value_kind:     global_buffer
      - .offset:         56
        .size:           4
        .value_kind:     by_value
      - .offset:         60
        .size:           4
        .value_kind:     by_value
      - .offset:         64
        .size:           4
        .value_kind:     by_value
      - .offset:         68
        .size:           4
        .value_kind:     by_value
      - .offset:         72
        .size:           4
        .value_kind:     by_value
      - .offset:         76
        .size:           4
        .value_kind:     by_value
      - .offset:         80
        .size:           1
        .value_kind:     by_value
      - .offset:         81
        .size:           1
        .value_kind:     by_value
      - .offset:         88
        .size:           4
        .value_kind:     hidden_block_count_x
      - .offset:         92
        .size:           4
        .value_kind:     hidden_block_count_y
      - .offset:         96
        .size:           4
        .value_kind:     hidden_block_count_z
      - .offset:         100
        .size:           2
        .value_kind:     hidden_group_size_x
      - .offset:         102
        .size:           2
        .value_kind:     hidden_group_size_y
      - .offset:         104
        .size:           2
        .value_kind:     hidden_group_size_z
      - .offset:         106
        .size:           2
        .value_kind:     hidden_remainder_x
      - .offset:         108
        .size:           2
        .value_kind:     hidden_remainder_y
      - .offset:         110
        .size:           2
        .value_kind:     hidden_remainder_z
      - .offset:         128
        .size:           8
        .value_kind:     hidden_global_offset_x
      - .offset:         136
        .size:           8
        .value_kind:     hidden_global_offset_y
      - .offset:         144
        .size:           8
        .value_kind:     hidden_global_offset_z
      - .offset:         152
        .size:           2
        .value_kind:     hidden_grid_dims
      - .offset:         168
        .size:           8
        .value_kind:     hidden_hostcall_buffer
    .group_segment_fixed_size: 16384
    .kernarg_segment_align: 8
    .kernarg_segment_size: 344
    .language:       OpenCL C
    .language_version:
      - 2
      - 0
    .max_flat_workgroup_size: 1024
    .name:           Transform_S_S_010_16_16_VW_4
    .private_segment_fixed_size: 64
    .sgpr_count:     42
    .sgpr_spill_count: 0
    .symbol:         Transform_S_S_010_16_16_VW_4.kd
    .uniform_work_group_size: 1
    .uses_dynamic_stack: false
    .vgpr_count:     44
    .vgpr_spill_count: 0
    .wavefront_size: 64
  - .args:
      - .address_space:  global
        .offset:         0
        .size:           8
        .value_kind:     global_buffer
      - .address_space:  global
        .offset:         8
        .size:           8
        .value_kind:     global_buffer
      - .address_space:  global
        .offset:         16
        .size:           8
        .value_kind:     global_buffer
      - .offset:         24
        .size:           4
        .value_kind:     by_value
      - .address_space:  global
        .offset:         32
        .size:           8
        .value_kind:     global_buffer
      - .offset:         40
        .size:           4
        .value_kind:     by_value
      - .address_space:  global
        .offset:         48
        .size:           8
        .value_kind:     global_buffer
      - .offset:         56
        .size:           4
        .value_kind:     by_value
      - .offset:         60
        .size:           4
        .value_kind:     by_value
      - .offset:         64
        .size:           4
        .value_kind:     by_value
      - .offset:         68
        .size:           4
        .value_kind:     by_value
      - .offset:         72
        .size:           4
        .value_kind:     by_value
      - .offset:         76
        .size:           4
        .value_kind:     by_value
      - .offset:         80
        .size:           1
        .value_kind:     by_value
      - .offset:         81
        .size:           1
        .value_kind:     by_value
      - .offset:         88
        .size:           4
        .value_kind:     hidden_block_count_x
      - .offset:         92
        .size:           4
        .value_kind:     hidden_block_count_y
      - .offset:         96
        .size:           4
        .value_kind:     hidden_block_count_z
      - .offset:         100
        .size:           2
        .value_kind:     hidden_group_size_x
      - .offset:         102
        .size:           2
        .value_kind:     hidden_group_size_y
      - .offset:         104
        .size:           2
        .value_kind:     hidden_group_size_z
      - .offset:         106
        .size:           2
        .value_kind:     hidden_remainder_x
      - .offset:         108
        .size:           2
        .value_kind:     hidden_remainder_y
      - .offset:         110
        .size:           2
        .value_kind:     hidden_remainder_z
      - .offset:         128
        .size:           8
        .value_kind:     hidden_global_offset_x
      - .offset:         136
        .size:           8
        .value_kind:     hidden_global_offset_y
      - .offset:         144
        .size:           8
        .value_kind:     hidden_global_offset_z
      - .offset:         152
        .size:           2
        .value_kind:     hidden_grid_dims
      - .offset:         168
        .size:           8
        .value_kind:     hidden_hostcall_buffer
    .group_segment_fixed_size: 0
    .kernarg_segment_align: 8
    .kernarg_segment_size: 344
    .language:       OpenCL C
    .language_version:
      - 2
      - 0
    .max_flat_workgroup_size: 1024
    .name:           Transform_S_S_001_16_16_VW_1
    .private_segment_fixed_size: 64
    .sgpr_count:     40
    .sgpr_spill_count: 0
    .symbol:         Transform_S_S_001_16_16_VW_1.kd
    .uniform_work_group_size: 1
    .uses_dynamic_stack: false
    .vgpr_count:     42
    .vgpr_spill_count: 0
    .wavefront_size: 64
  - .args:
      - .address_space:  global
        .offset:         0
        .size:           8
        .value_kind:     global_buffer
      - .address_space:  global
        .offset:         8
        .size:           8
        .value_kind:     global_buffer
      - .address_space:  global
        .offset:         16
        .size:           8
        .value_kind:     global_buffer
      - .offset:         24
        .size:           4
        .value_kind:     by_value
      - .address_space:  global
        .offset:         32
        .size:           8
        .value_kind:     global_buffer
      - .offset:         40
        .size:           4
        .value_kind:     by_value
      - .address_space:  global
        .offset:         48
        .size:           8
        .value_kind:     global_buffer
      - .offset:         56
        .size:           4
        .value_kind:     by_value
      - .offset:         60
        .size:           4
        .value_kind:     by_value
      - .offset:         64
        .size:           4
        .value_kind:     by_value
      - .offset:         68
        .size:           4
        .value_kind:     by_value
      - .offset:         72
        .size:           4
        .value_kind:     by_value
      - .offset:         76
        .size:           4
        .value_kind:     by_value
      - .offset:         80
        .size:           1
        .value_kind:     by_value
      - .offset:         81
        .size:           1
        .value_kind:     by_value
      - .offset:         88
        .size:           4
        .value_kind:     hidden_block_count_x
      - .offset:         92
        .size:           4
        .value_kind:     hidden_block_count_y
      - .offset:         96
        .size:           4
        .value_kind:     hidden_block_count_z
      - .offset:         100
        .size:           2
        .value_kind:     hidden_group_size_x
      - .offset:         102
        .size:           2
        .value_kind:     hidden_group_size_y
      - .offset:         104
        .size:           2
        .value_kind:     hidden_group_size_z
      - .offset:         106
        .size:           2
        .value_kind:     hidden_remainder_x
      - .offset:         108
        .size:           2
        .value_kind:     hidden_remainder_y
      - .offset:         110
        .size:           2
        .value_kind:     hidden_remainder_z
      - .offset:         128
        .size:           8
        .value_kind:     hidden_global_offset_x
      - .offset:         136
        .size:           8
        .value_kind:     hidden_global_offset_y
      - .offset:         144
        .size:           8
        .value_kind:     hidden_global_offset_z
      - .offset:         152
        .size:           2
        .value_kind:     hidden_grid_dims
      - .offset:         168
        .size:           8
        .value_kind:     hidden_hostcall_buffer
    .group_segment_fixed_size: 16384
    .kernarg_segment_align: 8
    .kernarg_segment_size: 344
    .language:       OpenCL C
    .language_version:
      - 2
      - 0
    .max_flat_workgroup_size: 1024
    .name:           Transform_S_S_001_16_16_VW_4
    .private_segment_fixed_size: 64
    .sgpr_count:     42
    .sgpr_spill_count: 0
    .symbol:         Transform_S_S_001_16_16_VW_4.kd
    .uniform_work_group_size: 1
    .uses_dynamic_stack: false
    .vgpr_count:     44
    .vgpr_spill_count: 0
    .wavefront_size: 64
  - .args:
      - .address_space:  global
        .offset:         0
        .size:           8
        .value_kind:     global_buffer
      - .address_space:  global
        .offset:         8
        .size:           8
        .value_kind:     global_buffer
      - .address_space:  global
        .offset:         16
        .size:           8
        .value_kind:     global_buffer
      - .offset:         24
        .size:           4
        .value_kind:     by_value
      - .address_space:  global
        .offset:         32
        .size:           8
        .value_kind:     global_buffer
      - .offset:         40
        .size:           4
        .value_kind:     by_value
      - .address_space:  global
        .offset:         48
        .size:           8
        .value_kind:     global_buffer
      - .offset:         56
        .size:           4
        .value_kind:     by_value
      - .offset:         60
        .size:           4
        .value_kind:     by_value
      - .offset:         64
        .size:           4
        .value_kind:     by_value
      - .offset:         68
        .size:           4
        .value_kind:     by_value
      - .offset:         72
        .size:           4
        .value_kind:     by_value
      - .offset:         76
        .size:           4
        .value_kind:     by_value
      - .offset:         80
        .size:           1
        .value_kind:     by_value
      - .offset:         81
        .size:           1
        .value_kind:     by_value
      - .offset:         88
        .size:           4
        .value_kind:     hidden_block_count_x
      - .offset:         92
        .size:           4
        .value_kind:     hidden_block_count_y
      - .offset:         96
        .size:           4
        .value_kind:     hidden_block_count_z
      - .offset:         100
        .size:           2
        .value_kind:     hidden_group_size_x
      - .offset:         102
        .size:           2
        .value_kind:     hidden_group_size_y
      - .offset:         104
        .size:           2
        .value_kind:     hidden_group_size_z
      - .offset:         106
        .size:           2
        .value_kind:     hidden_remainder_x
      - .offset:         108
        .size:           2
        .value_kind:     hidden_remainder_y
      - .offset:         110
        .size:           2
        .value_kind:     hidden_remainder_z
      - .offset:         128
        .size:           8
        .value_kind:     hidden_global_offset_x
      - .offset:         136
        .size:           8
        .value_kind:     hidden_global_offset_y
      - .offset:         144
        .size:           8
        .value_kind:     hidden_global_offset_z
      - .offset:         152
        .size:           2
        .value_kind:     hidden_grid_dims
      - .offset:         168
        .size:           8
        .value_kind:     hidden_hostcall_buffer
    .group_segment_fixed_size: 0
    .kernarg_segment_align: 8
    .kernarg_segment_size: 344
    .language:       OpenCL C
    .language_version:
      - 2
      - 0
    .max_flat_workgroup_size: 1024
    .name:           Transform_S_S_000_16_16_VW_1
    .private_segment_fixed_size: 64
    .sgpr_count:     40
    .sgpr_spill_count: 0
    .symbol:         Transform_S_S_000_16_16_VW_1.kd
    .uniform_work_group_size: 1
    .uses_dynamic_stack: false
    .vgpr_count:     42
    .vgpr_spill_count: 0
    .wavefront_size: 64
  - .args:
      - .address_space:  global
        .offset:         0
        .size:           8
        .value_kind:     global_buffer
      - .address_space:  global
        .offset:         8
        .size:           8
        .value_kind:     global_buffer
      - .address_space:  global
        .offset:         16
        .size:           8
        .value_kind:     global_buffer
      - .offset:         24
        .size:           4
        .value_kind:     by_value
      - .address_space:  global
        .offset:         32
        .size:           8
        .value_kind:     global_buffer
      - .offset:         40
        .size:           4
        .value_kind:     by_value
      - .address_space:  global
        .offset:         48
        .size:           8
        .value_kind:     global_buffer
      - .offset:         56
        .size:           4
        .value_kind:     by_value
      - .offset:         60
        .size:           4
        .value_kind:     by_value
      - .offset:         64
        .size:           4
        .value_kind:     by_value
      - .offset:         68
        .size:           4
        .value_kind:     by_value
      - .offset:         72
        .size:           4
        .value_kind:     by_value
      - .offset:         76
        .size:           4
        .value_kind:     by_value
      - .offset:         80
        .size:           1
        .value_kind:     by_value
      - .offset:         81
        .size:           1
        .value_kind:     by_value
      - .offset:         88
        .size:           4
        .value_kind:     hidden_block_count_x
      - .offset:         92
        .size:           4
        .value_kind:     hidden_block_count_y
      - .offset:         96
        .size:           4
        .value_kind:     hidden_block_count_z
      - .offset:         100
        .size:           2
        .value_kind:     hidden_group_size_x
      - .offset:         102
        .size:           2
        .value_kind:     hidden_group_size_y
      - .offset:         104
        .size:           2
        .value_kind:     hidden_group_size_z
      - .offset:         106
        .size:           2
        .value_kind:     hidden_remainder_x
      - .offset:         108
        .size:           2
        .value_kind:     hidden_remainder_y
      - .offset:         110
        .size:           2
        .value_kind:     hidden_remainder_z
      - .offset:         128
        .size:           8
        .value_kind:     hidden_global_offset_x
      - .offset:         136
        .size:           8
        .value_kind:     hidden_global_offset_y
      - .offset:         144
        .size:           8
        .value_kind:     hidden_global_offset_z
      - .offset:         152
        .size:           2
        .value_kind:     hidden_grid_dims
      - .offset:         168
        .size:           8
        .value_kind:     hidden_hostcall_buffer
    .group_segment_fixed_size: 16384
    .kernarg_segment_align: 8
    .kernarg_segment_size: 344
    .language:       OpenCL C
    .language_version:
      - 2
      - 0
    .max_flat_workgroup_size: 1024
    .name:           Transform_S_S_000_16_16_VW_4
    .private_segment_fixed_size: 64
    .sgpr_count:     42
    .sgpr_spill_count: 0
    .symbol:         Transform_S_S_000_16_16_VW_4.kd
    .uniform_work_group_size: 1
    .uses_dynamic_stack: false
    .vgpr_count:     44
    .vgpr_spill_count: 0
    .wavefront_size: 64
  - .args:
      - .address_space:  global
        .offset:         0
        .size:           8
        .value_kind:     global_buffer
      - .address_space:  global
        .offset:         8
        .size:           8
        .value_kind:     global_buffer
      - .address_space:  global
        .offset:         16
        .size:           8
        .value_kind:     global_buffer
      - .offset:         24
        .size:           2
        .value_kind:     by_value
      - .address_space:  global
        .offset:         32
        .size:           8
        .value_kind:     global_buffer
      - .offset:         40
        .size:           2
        .value_kind:     by_value
      - .address_space:  global
        .offset:         48
        .size:           8
        .value_kind:     global_buffer
      - .offset:         56
        .size:           4
        .value_kind:     by_value
      - .offset:         60
        .size:           4
        .value_kind:     by_value
      - .offset:         64
        .size:           4
        .value_kind:     by_value
      - .offset:         68
        .size:           4
        .value_kind:     by_value
      - .offset:         72
        .size:           4
        .value_kind:     by_value
      - .offset:         76
        .size:           4
        .value_kind:     by_value
      - .offset:         80
        .size:           1
        .value_kind:     by_value
      - .offset:         81
        .size:           1
        .value_kind:     by_value
      - .offset:         88
        .size:           4
        .value_kind:     hidden_block_count_x
      - .offset:         92
        .size:           4
        .value_kind:     hidden_block_count_y
      - .offset:         96
        .size:           4
        .value_kind:     hidden_block_count_z
      - .offset:         100
        .size:           2
        .value_kind:     hidden_group_size_x
      - .offset:         102
        .size:           2
        .value_kind:     hidden_group_size_y
      - .offset:         104
        .size:           2
        .value_kind:     hidden_group_size_z
      - .offset:         106
        .size:           2
        .value_kind:     hidden_remainder_x
      - .offset:         108
        .size:           2
        .value_kind:     hidden_remainder_y
      - .offset:         110
        .size:           2
        .value_kind:     hidden_remainder_z
      - .offset:         128
        .size:           8
        .value_kind:     hidden_global_offset_x
      - .offset:         136
        .size:           8
        .value_kind:     hidden_global_offset_y
      - .offset:         144
        .size:           8
        .value_kind:     hidden_global_offset_z
      - .offset:         152
        .size:           2
        .value_kind:     hidden_grid_dims
      - .offset:         168
        .size:           8
        .value_kind:     hidden_hostcall_buffer
    .group_segment_fixed_size: 0
    .kernarg_segment_align: 8
    .kernarg_segment_size: 344
    .language:       OpenCL C
    .language_version:
      - 2
      - 0
    .max_flat_workgroup_size: 1024
    .name:           Transform_H_H_111_16_16_VW_1
    .private_segment_fixed_size: 64
    .sgpr_count:     40
    .sgpr_spill_count: 0
    .symbol:         Transform_H_H_111_16_16_VW_1.kd
    .uniform_work_group_size: 1
    .uses_dynamic_stack: false
    .vgpr_count:     42
    .vgpr_spill_count: 0
    .wavefront_size: 64
  - .args:
      - .address_space:  global
        .offset:         0
        .size:           8
        .value_kind:     global_buffer
      - .address_space:  global
        .offset:         8
        .size:           8
        .value_kind:     global_buffer
      - .address_space:  global
        .offset:         16
        .size:           8
        .value_kind:     global_buffer
      - .offset:         24
        .size:           2
        .value_kind:     by_value
      - .address_space:  global
        .offset:         32
        .size:           8
        .value_kind:     global_buffer
      - .offset:         40
        .size:           2
        .value_kind:     by_value
      - .address_space:  global
        .offset:         48
        .size:           8
        .value_kind:     global_buffer
      - .offset:         56
        .size:           4
        .value_kind:     by_value
      - .offset:         60
        .size:           4
        .value_kind:     by_value
      - .offset:         64
        .size:           4
        .value_kind:     by_value
      - .offset:         68
        .size:           4
        .value_kind:     by_value
      - .offset:         72
        .size:           4
        .value_kind:     by_value
      - .offset:         76
        .size:           4
        .value_kind:     by_value
      - .offset:         80
        .size:           1
        .value_kind:     by_value
      - .offset:         81
        .size:           1
        .value_kind:     by_value
      - .offset:         88
        .size:           4
        .value_kind:     hidden_block_count_x
      - .offset:         92
        .size:           4
        .value_kind:     hidden_block_count_y
      - .offset:         96
        .size:           4
        .value_kind:     hidden_block_count_z
      - .offset:         100
        .size:           2
        .value_kind:     hidden_group_size_x
      - .offset:         102
        .size:           2
        .value_kind:     hidden_group_size_y
      - .offset:         104
        .size:           2
        .value_kind:     hidden_group_size_z
      - .offset:         106
        .size:           2
        .value_kind:     hidden_remainder_x
      - .offset:         108
        .size:           2
        .value_kind:     hidden_remainder_y
      - .offset:         110
        .size:           2
        .value_kind:     hidden_remainder_z
      - .offset:         128
        .size:           8
        .value_kind:     hidden_global_offset_x
      - .offset:         136
        .size:           8
        .value_kind:     hidden_global_offset_y
      - .offset:         144
        .size:           8
        .value_kind:     hidden_global_offset_z
      - .offset:         152
        .size:           2
        .value_kind:     hidden_grid_dims
      - .offset:         168
        .size:           8
        .value_kind:     hidden_hostcall_buffer
    .group_segment_fixed_size: 0
    .kernarg_segment_align: 8
    .kernarg_segment_size: 344
    .language:       OpenCL C
    .language_version:
      - 2
      - 0
    .max_flat_workgroup_size: 1024
    .name:           Transform_H_H_111_16_16_VW_4
    .private_segment_fixed_size: 64
    .sgpr_count:     40
    .sgpr_spill_count: 0
    .symbol:         Transform_H_H_111_16_16_VW_4.kd
    .uniform_work_group_size: 1
    .uses_dynamic_stack: false
    .vgpr_count:     42
    .vgpr_spill_count: 0
    .wavefront_size: 64
  - .args:
      - .address_space:  global
        .offset:         0
        .size:           8
        .value_kind:     global_buffer
      - .address_space:  global
        .offset:         8
        .size:           8
        .value_kind:     global_buffer
      - .address_space:  global
        .offset:         16
        .size:           8
        .value_kind:     global_buffer
      - .offset:         24
        .size:           2
        .value_kind:     by_value
      - .address_space:  global
        .offset:         32
        .size:           8
        .value_kind:     global_buffer
      - .offset:         40
        .size:           2
        .value_kind:     by_value
      - .address_space:  global
        .offset:         48
        .size:           8
        .value_kind:     global_buffer
      - .offset:         56
        .size:           4
        .value_kind:     by_value
      - .offset:         60
        .size:           4
        .value_kind:     by_value
      - .offset:         64
        .size:           4
        .value_kind:     by_value
      - .offset:         68
        .size:           4
        .value_kind:     by_value
      - .offset:         72
        .size:           4
        .value_kind:     by_value
      - .offset:         76
        .size:           4
        .value_kind:     by_value
      - .offset:         80
        .size:           1
        .value_kind:     by_value
      - .offset:         81
        .size:           1
        .value_kind:     by_value
      - .offset:         88
        .size:           4
        .value_kind:     hidden_block_count_x
      - .offset:         92
        .size:           4
        .value_kind:     hidden_block_count_y
      - .offset:         96
        .size:           4
        .value_kind:     hidden_block_count_z
      - .offset:         100
        .size:           2
        .value_kind:     hidden_group_size_x
      - .offset:         102
        .size:           2
        .value_kind:     hidden_group_size_y
      - .offset:         104
        .size:           2
        .value_kind:     hidden_group_size_z
      - .offset:         106
        .size:           2
        .value_kind:     hidden_remainder_x
      - .offset:         108
        .size:           2
        .value_kind:     hidden_remainder_y
      - .offset:         110
        .size:           2
        .value_kind:     hidden_remainder_z
      - .offset:         128
        .size:           8
        .value_kind:     hidden_global_offset_x
      - .offset:         136
        .size:           8
        .value_kind:     hidden_global_offset_y
      - .offset:         144
        .size:           8
        .value_kind:     hidden_global_offset_z
      - .offset:         152
        .size:           2
        .value_kind:     hidden_grid_dims
      - .offset:         168
        .size:           8
        .value_kind:     hidden_hostcall_buffer
    .group_segment_fixed_size: 0
    .kernarg_segment_align: 8
    .kernarg_segment_size: 344
    .language:       OpenCL C
    .language_version:
      - 2
      - 0
    .max_flat_workgroup_size: 1024
    .name:           Transform_H_H_110_16_16_VW_1
    .private_segment_fixed_size: 64
    .sgpr_count:     40
    .sgpr_spill_count: 0
    .symbol:         Transform_H_H_110_16_16_VW_1.kd
    .uniform_work_group_size: 1
    .uses_dynamic_stack: false
    .vgpr_count:     42
    .vgpr_spill_count: 0
    .wavefront_size: 64
  - .args:
      - .address_space:  global
        .offset:         0
        .size:           8
        .value_kind:     global_buffer
      - .address_space:  global
        .offset:         8
        .size:           8
        .value_kind:     global_buffer
      - .address_space:  global
        .offset:         16
        .size:           8
        .value_kind:     global_buffer
      - .offset:         24
        .size:           2
        .value_kind:     by_value
      - .address_space:  global
        .offset:         32
        .size:           8
        .value_kind:     global_buffer
      - .offset:         40
        .size:           2
        .value_kind:     by_value
      - .address_space:  global
        .offset:         48
        .size:           8
        .value_kind:     global_buffer
      - .offset:         56
        .size:           4
        .value_kind:     by_value
      - .offset:         60
        .size:           4
        .value_kind:     by_value
      - .offset:         64
        .size:           4
        .value_kind:     by_value
      - .offset:         68
        .size:           4
        .value_kind:     by_value
      - .offset:         72
        .size:           4
        .value_kind:     by_value
      - .offset:         76
        .size:           4
        .value_kind:     by_value
      - .offset:         80
        .size:           1
        .value_kind:     by_value
      - .offset:         81
        .size:           1
        .value_kind:     by_value
      - .offset:         88
        .size:           4
        .value_kind:     hidden_block_count_x
      - .offset:         92
        .size:           4
        .value_kind:     hidden_block_count_y
      - .offset:         96
        .size:           4
        .value_kind:     hidden_block_count_z
      - .offset:         100
        .size:           2
        .value_kind:     hidden_group_size_x
      - .offset:         102
        .size:           2
        .value_kind:     hidden_group_size_y
      - .offset:         104
        .size:           2
        .value_kind:     hidden_group_size_z
      - .offset:         106
        .size:           2
        .value_kind:     hidden_remainder_x
      - .offset:         108
        .size:           2
        .value_kind:     hidden_remainder_y
      - .offset:         110
        .size:           2
        .value_kind:     hidden_remainder_z
      - .offset:         128
        .size:           8
        .value_kind:     hidden_global_offset_x
      - .offset:         136
        .size:           8
        .value_kind:     hidden_global_offset_y
      - .offset:         144
        .size:           8
        .value_kind:     hidden_global_offset_z
      - .offset:         152
        .size:           2
        .value_kind:     hidden_grid_dims
      - .offset:         168
        .size:           8
        .value_kind:     hidden_hostcall_buffer
    .group_segment_fixed_size: 0
    .kernarg_segment_align: 8
    .kernarg_segment_size: 344
    .language:       OpenCL C
    .language_version:
      - 2
      - 0
    .max_flat_workgroup_size: 1024
    .name:           Transform_H_H_110_16_16_VW_4
    .private_segment_fixed_size: 64
    .sgpr_count:     40
    .sgpr_spill_count: 0
    .symbol:         Transform_H_H_110_16_16_VW_4.kd
    .uniform_work_group_size: 1
    .uses_dynamic_stack: false
    .vgpr_count:     42
    .vgpr_spill_count: 0
    .wavefront_size: 64
  - .args:
      - .address_space:  global
        .offset:         0
        .size:           8
        .value_kind:     global_buffer
      - .address_space:  global
        .offset:         8
        .size:           8
        .value_kind:     global_buffer
      - .address_space:  global
        .offset:         16
        .size:           8
        .value_kind:     global_buffer
      - .offset:         24
        .size:           2
        .value_kind:     by_value
      - .address_space:  global
        .offset:         32
        .size:           8
        .value_kind:     global_buffer
      - .offset:         40
        .size:           2
        .value_kind:     by_value
      - .address_space:  global
        .offset:         48
        .size:           8
        .value_kind:     global_buffer
      - .offset:         56
        .size:           4
        .value_kind:     by_value
      - .offset:         60
        .size:           4
        .value_kind:     by_value
      - .offset:         64
        .size:           4
        .value_kind:     by_value
      - .offset:         68
        .size:           4
        .value_kind:     by_value
      - .offset:         72
        .size:           4
        .value_kind:     by_value
      - .offset:         76
        .size:           4
        .value_kind:     by_value
      - .offset:         80
        .size:           1
        .value_kind:     by_value
      - .offset:         81
        .size:           1
        .value_kind:     by_value
      - .offset:         88
        .size:           4
        .value_kind:     hidden_block_count_x
      - .offset:         92
        .size:           4
        .value_kind:     hidden_block_count_y
      - .offset:         96
        .size:           4
        .value_kind:     hidden_block_count_z
      - .offset:         100
        .size:           2
        .value_kind:     hidden_group_size_x
      - .offset:         102
        .size:           2
        .value_kind:     hidden_group_size_y
      - .offset:         104
        .size:           2
        .value_kind:     hidden_group_size_z
      - .offset:         106
        .size:           2
        .value_kind:     hidden_remainder_x
      - .offset:         108
        .size:           2
        .value_kind:     hidden_remainder_y
      - .offset:         110
        .size:           2
        .value_kind:     hidden_remainder_z
      - .offset:         128
        .size:           8
        .value_kind:     hidden_global_offset_x
      - .offset:         136
        .size:           8
        .value_kind:     hidden_global_offset_y
      - .offset:         144
        .size:           8
        .value_kind:     hidden_global_offset_z
      - .offset:         152
        .size:           2
        .value_kind:     hidden_grid_dims
      - .offset:         168
        .size:           8
        .value_kind:     hidden_hostcall_buffer
    .group_segment_fixed_size: 0
    .kernarg_segment_align: 8
    .kernarg_segment_size: 344
    .language:       OpenCL C
    .language_version:
      - 2
      - 0
    .max_flat_workgroup_size: 1024
    .name:           Transform_H_H_101_16_16_VW_1
    .private_segment_fixed_size: 64
    .sgpr_count:     40
    .sgpr_spill_count: 0
    .symbol:         Transform_H_H_101_16_16_VW_1.kd
    .uniform_work_group_size: 1
    .uses_dynamic_stack: false
    .vgpr_count:     42
    .vgpr_spill_count: 0
    .wavefront_size: 64
  - .args:
      - .address_space:  global
        .offset:         0
        .size:           8
        .value_kind:     global_buffer
      - .address_space:  global
        .offset:         8
        .size:           8
        .value_kind:     global_buffer
      - .address_space:  global
        .offset:         16
        .size:           8
        .value_kind:     global_buffer
      - .offset:         24
        .size:           2
        .value_kind:     by_value
      - .address_space:  global
        .offset:         32
        .size:           8
        .value_kind:     global_buffer
      - .offset:         40
        .size:           2
        .value_kind:     by_value
      - .address_space:  global
        .offset:         48
        .size:           8
        .value_kind:     global_buffer
      - .offset:         56
        .size:           4
        .value_kind:     by_value
      - .offset:         60
        .size:           4
        .value_kind:     by_value
      - .offset:         64
        .size:           4
        .value_kind:     by_value
      - .offset:         68
        .size:           4
        .value_kind:     by_value
      - .offset:         72
        .size:           4
        .value_kind:     by_value
      - .offset:         76
        .size:           4
        .value_kind:     by_value
      - .offset:         80
        .size:           1
        .value_kind:     by_value
      - .offset:         81
        .size:           1
        .value_kind:     by_value
      - .offset:         88
        .size:           4
        .value_kind:     hidden_block_count_x
      - .offset:         92
        .size:           4
        .value_kind:     hidden_block_count_y
      - .offset:         96
        .size:           4
        .value_kind:     hidden_block_count_z
      - .offset:         100
        .size:           2
        .value_kind:     hidden_group_size_x
      - .offset:         102
        .size:           2
        .value_kind:     hidden_group_size_y
      - .offset:         104
        .size:           2
        .value_kind:     hidden_group_size_z
      - .offset:         106
        .size:           2
        .value_kind:     hidden_remainder_x
      - .offset:         108
        .size:           2
        .value_kind:     hidden_remainder_y
      - .offset:         110
        .size:           2
        .value_kind:     hidden_remainder_z
      - .offset:         128
        .size:           8
        .value_kind:     hidden_global_offset_x
      - .offset:         136
        .size:           8
        .value_kind:     hidden_global_offset_y
      - .offset:         144
        .size:           8
        .value_kind:     hidden_global_offset_z
      - .offset:         152
        .size:           2
        .value_kind:     hidden_grid_dims
      - .offset:         168
        .size:           8
        .value_kind:     hidden_hostcall_buffer
    .group_segment_fixed_size: 0
    .kernarg_segment_align: 8
    .kernarg_segment_size: 344
    .language:       OpenCL C
    .language_version:
      - 2
      - 0
    .max_flat_workgroup_size: 1024
    .name:           Transform_H_H_101_16_16_VW_4
    .private_segment_fixed_size: 64
    .sgpr_count:     40
    .sgpr_spill_count: 0
    .symbol:         Transform_H_H_101_16_16_VW_4.kd
    .uniform_work_group_size: 1
    .uses_dynamic_stack: false
    .vgpr_count:     42
    .vgpr_spill_count: 0
    .wavefront_size: 64
  - .args:
      - .address_space:  global
        .offset:         0
        .size:           8
        .value_kind:     global_buffer
      - .address_space:  global
        .offset:         8
        .size:           8
        .value_kind:     global_buffer
      - .address_space:  global
        .offset:         16
        .size:           8
        .value_kind:     global_buffer
      - .offset:         24
        .size:           2
        .value_kind:     by_value
      - .address_space:  global
        .offset:         32
        .size:           8
        .value_kind:     global_buffer
      - .offset:         40
        .size:           2
        .value_kind:     by_value
      - .address_space:  global
        .offset:         48
        .size:           8
        .value_kind:     global_buffer
      - .offset:         56
        .size:           4
        .value_kind:     by_value
      - .offset:         60
        .size:           4
        .value_kind:     by_value
      - .offset:         64
        .size:           4
        .value_kind:     by_value
      - .offset:         68
        .size:           4
        .value_kind:     by_value
      - .offset:         72
        .size:           4
        .value_kind:     by_value
      - .offset:         76
        .size:           4
        .value_kind:     by_value
      - .offset:         80
        .size:           1
        .value_kind:     by_value
      - .offset:         81
        .size:           1
        .value_kind:     by_value
      - .offset:         88
        .size:           4
        .value_kind:     hidden_block_count_x
      - .offset:         92
        .size:           4
        .value_kind:     hidden_block_count_y
      - .offset:         96
        .size:           4
        .value_kind:     hidden_block_count_z
      - .offset:         100
        .size:           2
        .value_kind:     hidden_group_size_x
      - .offset:         102
        .size:           2
        .value_kind:     hidden_group_size_y
      - .offset:         104
        .size:           2
        .value_kind:     hidden_group_size_z
      - .offset:         106
        .size:           2
        .value_kind:     hidden_remainder_x
      - .offset:         108
        .size:           2
        .value_kind:     hidden_remainder_y
      - .offset:         110
        .size:           2
        .value_kind:     hidden_remainder_z
      - .offset:         128
        .size:           8
        .value_kind:     hidden_global_offset_x
      - .offset:         136
        .size:           8
        .value_kind:     hidden_global_offset_y
      - .offset:         144
        .size:           8
        .value_kind:     hidden_global_offset_z
      - .offset:         152
        .size:           2
        .value_kind:     hidden_grid_dims
      - .offset:         168
        .size:           8
        .value_kind:     hidden_hostcall_buffer
    .group_segment_fixed_size: 0
    .kernarg_segment_align: 8
    .kernarg_segment_size: 344
    .language:       OpenCL C
    .language_version:
      - 2
      - 0
    .max_flat_workgroup_size: 1024
    .name:           Transform_H_H_100_16_16_VW_1
    .private_segment_fixed_size: 64
    .sgpr_count:     40
    .sgpr_spill_count: 0
    .symbol:         Transform_H_H_100_16_16_VW_1.kd
    .uniform_work_group_size: 1
    .uses_dynamic_stack: false
    .vgpr_count:     42
    .vgpr_spill_count: 0
    .wavefront_size: 64
  - .args:
      - .address_space:  global
        .offset:         0
        .size:           8
        .value_kind:     global_buffer
      - .address_space:  global
        .offset:         8
        .size:           8
        .value_kind:     global_buffer
      - .address_space:  global
        .offset:         16
        .size:           8
        .value_kind:     global_buffer
      - .offset:         24
        .size:           2
        .value_kind:     by_value
      - .address_space:  global
        .offset:         32
        .size:           8
        .value_kind:     global_buffer
      - .offset:         40
        .size:           2
        .value_kind:     by_value
      - .address_space:  global
        .offset:         48
        .size:           8
        .value_kind:     global_buffer
      - .offset:         56
        .size:           4
        .value_kind:     by_value
      - .offset:         60
        .size:           4
        .value_kind:     by_value
      - .offset:         64
        .size:           4
        .value_kind:     by_value
      - .offset:         68
        .size:           4
        .value_kind:     by_value
      - .offset:         72
        .size:           4
        .value_kind:     by_value
      - .offset:         76
        .size:           4
        .value_kind:     by_value
      - .offset:         80
        .size:           1
        .value_kind:     by_value
      - .offset:         81
        .size:           1
        .value_kind:     by_value
      - .offset:         88
        .size:           4
        .value_kind:     hidden_block_count_x
      - .offset:         92
        .size:           4
        .value_kind:     hidden_block_count_y
      - .offset:         96
        .size:           4
        .value_kind:     hidden_block_count_z
      - .offset:         100
        .size:           2
        .value_kind:     hidden_group_size_x
      - .offset:         102
        .size:           2
        .value_kind:     hidden_group_size_y
      - .offset:         104
        .size:           2
        .value_kind:     hidden_group_size_z
      - .offset:         106
        .size:           2
        .value_kind:     hidden_remainder_x
      - .offset:         108
        .size:           2
        .value_kind:     hidden_remainder_y
      - .offset:         110
        .size:           2
        .value_kind:     hidden_remainder_z
      - .offset:         128
        .size:           8
        .value_kind:     hidden_global_offset_x
      - .offset:         136
        .size:           8
        .value_kind:     hidden_global_offset_y
      - .offset:         144
        .size:           8
        .value_kind:     hidden_global_offset_z
      - .offset:         152
        .size:           2
        .value_kind:     hidden_grid_dims
      - .offset:         168
        .size:           8
        .value_kind:     hidden_hostcall_buffer
    .group_segment_fixed_size: 0
    .kernarg_segment_align: 8
    .kernarg_segment_size: 344
    .language:       OpenCL C
    .language_version:
      - 2
      - 0
    .max_flat_workgroup_size: 1024
    .name:           Transform_H_H_100_16_16_VW_4
    .private_segment_fixed_size: 64
    .sgpr_count:     40
    .sgpr_spill_count: 0
    .symbol:         Transform_H_H_100_16_16_VW_4.kd
    .uniform_work_group_size: 1
    .uses_dynamic_stack: false
    .vgpr_count:     42
    .vgpr_spill_count: 0
    .wavefront_size: 64
  - .args:
      - .address_space:  global
        .offset:         0
        .size:           8
        .value_kind:     global_buffer
      - .address_space:  global
        .offset:         8
        .size:           8
        .value_kind:     global_buffer
      - .address_space:  global
        .offset:         16
        .size:           8
        .value_kind:     global_buffer
      - .offset:         24
        .size:           2
        .value_kind:     by_value
      - .address_space:  global
        .offset:         32
        .size:           8
        .value_kind:     global_buffer
      - .offset:         40
        .size:           2
        .value_kind:     by_value
      - .address_space:  global
        .offset:         48
        .size:           8
        .value_kind:     global_buffer
      - .offset:         56
        .size:           4
        .value_kind:     by_value
      - .offset:         60
        .size:           4
        .value_kind:     by_value
      - .offset:         64
        .size:           4
        .value_kind:     by_value
      - .offset:         68
        .size:           4
        .value_kind:     by_value
      - .offset:         72
        .size:           4
        .value_kind:     by_value
      - .offset:         76
        .size:           4
        .value_kind:     by_value
      - .offset:         80
        .size:           1
        .value_kind:     by_value
      - .offset:         81
        .size:           1
        .value_kind:     by_value
      - .offset:         88
        .size:           4
        .value_kind:     hidden_block_count_x
      - .offset:         92
        .size:           4
        .value_kind:     hidden_block_count_y
      - .offset:         96
        .size:           4
        .value_kind:     hidden_block_count_z
      - .offset:         100
        .size:           2
        .value_kind:     hidden_group_size_x
      - .offset:         102
        .size:           2
        .value_kind:     hidden_group_size_y
      - .offset:         104
        .size:           2
        .value_kind:     hidden_group_size_z
      - .offset:         106
        .size:           2
        .value_kind:     hidden_remainder_x
      - .offset:         108
        .size:           2
        .value_kind:     hidden_remainder_y
      - .offset:         110
        .size:           2
        .value_kind:     hidden_remainder_z
      - .offset:         128
        .size:           8
        .value_kind:     hidden_global_offset_x
      - .offset:         136
        .size:           8
        .value_kind:     hidden_global_offset_y
      - .offset:         144
        .size:           8
        .value_kind:     hidden_global_offset_z
      - .offset:         152
        .size:           2
        .value_kind:     hidden_grid_dims
      - .offset:         168
        .size:           8
        .value_kind:     hidden_hostcall_buffer
    .group_segment_fixed_size: 0
    .kernarg_segment_align: 8
    .kernarg_segment_size: 344
    .language:       OpenCL C
    .language_version:
      - 2
      - 0
    .max_flat_workgroup_size: 1024
    .name:           Transform_H_H_011_16_16_VW_1
    .private_segment_fixed_size: 64
    .sgpr_count:     40
    .sgpr_spill_count: 0
    .symbol:         Transform_H_H_011_16_16_VW_1.kd
    .uniform_work_group_size: 1
    .uses_dynamic_stack: false
    .vgpr_count:     42
    .vgpr_spill_count: 0
    .wavefront_size: 64
  - .args:
      - .address_space:  global
        .offset:         0
        .size:           8
        .value_kind:     global_buffer
      - .address_space:  global
        .offset:         8
        .size:           8
        .value_kind:     global_buffer
      - .address_space:  global
        .offset:         16
        .size:           8
        .value_kind:     global_buffer
      - .offset:         24
        .size:           2
        .value_kind:     by_value
      - .address_space:  global
        .offset:         32
        .size:           8
        .value_kind:     global_buffer
      - .offset:         40
        .size:           2
        .value_kind:     by_value
      - .address_space:  global
        .offset:         48
        .size:           8
        .value_kind:     global_buffer
      - .offset:         56
        .size:           4
        .value_kind:     by_value
      - .offset:         60
        .size:           4
        .value_kind:     by_value
      - .offset:         64
        .size:           4
        .value_kind:     by_value
      - .offset:         68
        .size:           4
        .value_kind:     by_value
      - .offset:         72
        .size:           4
        .value_kind:     by_value
      - .offset:         76
        .size:           4
        .value_kind:     by_value
      - .offset:         80
        .size:           1
        .value_kind:     by_value
      - .offset:         81
        .size:           1
        .value_kind:     by_value
      - .offset:         88
        .size:           4
        .value_kind:     hidden_block_count_x
      - .offset:         92
        .size:           4
        .value_kind:     hidden_block_count_y
      - .offset:         96
        .size:           4
        .value_kind:     hidden_block_count_z
      - .offset:         100
        .size:           2
        .value_kind:     hidden_group_size_x
      - .offset:         102
        .size:           2
        .value_kind:     hidden_group_size_y
      - .offset:         104
        .size:           2
        .value_kind:     hidden_group_size_z
      - .offset:         106
        .size:           2
        .value_kind:     hidden_remainder_x
      - .offset:         108
        .size:           2
        .value_kind:     hidden_remainder_y
      - .offset:         110
        .size:           2
        .value_kind:     hidden_remainder_z
      - .offset:         128
        .size:           8
        .value_kind:     hidden_global_offset_x
      - .offset:         136
        .size:           8
        .value_kind:     hidden_global_offset_y
      - .offset:         144
        .size:           8
        .value_kind:     hidden_global_offset_z
      - .offset:         152
        .size:           2
        .value_kind:     hidden_grid_dims
      - .offset:         168
        .size:           8
        .value_kind:     hidden_hostcall_buffer
    .group_segment_fixed_size: 0
    .kernarg_segment_align: 8
    .kernarg_segment_size: 344
    .language:       OpenCL C
    .language_version:
      - 2
      - 0
    .max_flat_workgroup_size: 1024
    .name:           Transform_H_H_011_16_16_VW_4
    .private_segment_fixed_size: 64
    .sgpr_count:     40
    .sgpr_spill_count: 0
    .symbol:         Transform_H_H_011_16_16_VW_4.kd
    .uniform_work_group_size: 1
    .uses_dynamic_stack: false
    .vgpr_count:     42
    .vgpr_spill_count: 0
    .wavefront_size: 64
  - .args:
      - .address_space:  global
        .offset:         0
        .size:           8
        .value_kind:     global_buffer
      - .address_space:  global
        .offset:         8
        .size:           8
        .value_kind:     global_buffer
      - .address_space:  global
        .offset:         16
        .size:           8
        .value_kind:     global_buffer
      - .offset:         24
        .size:           2
        .value_kind:     by_value
      - .address_space:  global
        .offset:         32
        .size:           8
        .value_kind:     global_buffer
      - .offset:         40
        .size:           2
        .value_kind:     by_value
      - .address_space:  global
        .offset:         48
        .size:           8
        .value_kind:     global_buffer
      - .offset:         56
        .size:           4
        .value_kind:     by_value
      - .offset:         60
        .size:           4
        .value_kind:     by_value
      - .offset:         64
        .size:           4
        .value_kind:     by_value
      - .offset:         68
        .size:           4
        .value_kind:     by_value
      - .offset:         72
        .size:           4
        .value_kind:     by_value
      - .offset:         76
        .size:           4
        .value_kind:     by_value
      - .offset:         80
        .size:           1
        .value_kind:     by_value
      - .offset:         81
        .size:           1
        .value_kind:     by_value
      - .offset:         88
        .size:           4
        .value_kind:     hidden_block_count_x
      - .offset:         92
        .size:           4
        .value_kind:     hidden_block_count_y
      - .offset:         96
        .size:           4
        .value_kind:     hidden_block_count_z
      - .offset:         100
        .size:           2
        .value_kind:     hidden_group_size_x
      - .offset:         102
        .size:           2
        .value_kind:     hidden_group_size_y
      - .offset:         104
        .size:           2
        .value_kind:     hidden_group_size_z
      - .offset:         106
        .size:           2
        .value_kind:     hidden_remainder_x
      - .offset:         108
        .size:           2
        .value_kind:     hidden_remainder_y
      - .offset:         110
        .size:           2
        .value_kind:     hidden_remainder_z
      - .offset:         128
        .size:           8
        .value_kind:     hidden_global_offset_x
      - .offset:         136
        .size:           8
        .value_kind:     hidden_global_offset_y
      - .offset:         144
        .size:           8
        .value_kind:     hidden_global_offset_z
      - .offset:         152
        .size:           2
        .value_kind:     hidden_grid_dims
      - .offset:         168
        .size:           8
        .value_kind:     hidden_hostcall_buffer
    .group_segment_fixed_size: 0
    .kernarg_segment_align: 8
    .kernarg_segment_size: 344
    .language:       OpenCL C
    .language_version:
      - 2
      - 0
    .max_flat_workgroup_size: 1024
    .name:           Transform_H_H_010_16_16_VW_1
    .private_segment_fixed_size: 64
    .sgpr_count:     40
    .sgpr_spill_count: 0
    .symbol:         Transform_H_H_010_16_16_VW_1.kd
    .uniform_work_group_size: 1
    .uses_dynamic_stack: false
    .vgpr_count:     42
    .vgpr_spill_count: 0
    .wavefront_size: 64
  - .args:
      - .address_space:  global
        .offset:         0
        .size:           8
        .value_kind:     global_buffer
      - .address_space:  global
        .offset:         8
        .size:           8
        .value_kind:     global_buffer
      - .address_space:  global
        .offset:         16
        .size:           8
        .value_kind:     global_buffer
      - .offset:         24
        .size:           2
        .value_kind:     by_value
      - .address_space:  global
        .offset:         32
        .size:           8
        .value_kind:     global_buffer
      - .offset:         40
        .size:           2
        .value_kind:     by_value
      - .address_space:  global
        .offset:         48
        .size:           8
        .value_kind:     global_buffer
      - .offset:         56
        .size:           4
        .value_kind:     by_value
      - .offset:         60
        .size:           4
        .value_kind:     by_value
      - .offset:         64
        .size:           4
        .value_kind:     by_value
      - .offset:         68
        .size:           4
        .value_kind:     by_value
      - .offset:         72
        .size:           4
        .value_kind:     by_value
      - .offset:         76
        .size:           4
        .value_kind:     by_value
      - .offset:         80
        .size:           1
        .value_kind:     by_value
      - .offset:         81
        .size:           1
        .value_kind:     by_value
      - .offset:         88
        .size:           4
        .value_kind:     hidden_block_count_x
      - .offset:         92
        .size:           4
        .value_kind:     hidden_block_count_y
      - .offset:         96
        .size:           4
        .value_kind:     hidden_block_count_z
      - .offset:         100
        .size:           2
        .value_kind:     hidden_group_size_x
      - .offset:         102
        .size:           2
        .value_kind:     hidden_group_size_y
      - .offset:         104
        .size:           2
        .value_kind:     hidden_group_size_z
      - .offset:         106
        .size:           2
        .value_kind:     hidden_remainder_x
      - .offset:         108
        .size:           2
        .value_kind:     hidden_remainder_y
      - .offset:         110
        .size:           2
        .value_kind:     hidden_remainder_z
      - .offset:         128
        .size:           8
        .value_kind:     hidden_global_offset_x
      - .offset:         136
        .size:           8
        .value_kind:     hidden_global_offset_y
      - .offset:         144
        .size:           8
        .value_kind:     hidden_global_offset_z
      - .offset:         152
        .size:           2
        .value_kind:     hidden_grid_dims
      - .offset:         168
        .size:           8
        .value_kind:     hidden_hostcall_buffer
    .group_segment_fixed_size: 0
    .kernarg_segment_align: 8
    .kernarg_segment_size: 344
    .language:       OpenCL C
    .language_version:
      - 2
      - 0
    .max_flat_workgroup_size: 1024
    .name:           Transform_H_H_010_16_16_VW_4
    .private_segment_fixed_size: 64
    .sgpr_count:     40
    .sgpr_spill_count: 0
    .symbol:         Transform_H_H_010_16_16_VW_4.kd
    .uniform_work_group_size: 1
    .uses_dynamic_stack: false
    .vgpr_count:     42
    .vgpr_spill_count: 0
    .wavefront_size: 64
  - .args:
      - .address_space:  global
        .offset:         0
        .size:           8
        .value_kind:     global_buffer
      - .address_space:  global
        .offset:         8
        .size:           8
        .value_kind:     global_buffer
      - .address_space:  global
        .offset:         16
        .size:           8
        .value_kind:     global_buffer
      - .offset:         24
        .size:           2
        .value_kind:     by_value
      - .address_space:  global
        .offset:         32
        .size:           8
        .value_kind:     global_buffer
      - .offset:         40
        .size:           2
        .value_kind:     by_value
      - .address_space:  global
        .offset:         48
        .size:           8
        .value_kind:     global_buffer
      - .offset:         56
        .size:           4
        .value_kind:     by_value
      - .offset:         60
        .size:           4
        .value_kind:     by_value
      - .offset:         64
        .size:           4
        .value_kind:     by_value
      - .offset:         68
        .size:           4
        .value_kind:     by_value
      - .offset:         72
        .size:           4
        .value_kind:     by_value
      - .offset:         76
        .size:           4
        .value_kind:     by_value
      - .offset:         80
        .size:           1
        .value_kind:     by_value
      - .offset:         81
        .size:           1
        .value_kind:     by_value
      - .offset:         88
        .size:           4
        .value_kind:     hidden_block_count_x
      - .offset:         92
        .size:           4
        .value_kind:     hidden_block_count_y
      - .offset:         96
        .size:           4
        .value_kind:     hidden_block_count_z
      - .offset:         100
        .size:           2
        .value_kind:     hidden_group_size_x
      - .offset:         102
        .size:           2
        .value_kind:     hidden_group_size_y
      - .offset:         104
        .size:           2
        .value_kind:     hidden_group_size_z
      - .offset:         106
        .size:           2
        .value_kind:     hidden_remainder_x
      - .offset:         108
        .size:           2
        .value_kind:     hidden_remainder_y
      - .offset:         110
        .size:           2
        .value_kind:     hidden_remainder_z
      - .offset:         128
        .size:           8
        .value_kind:     hidden_global_offset_x
      - .offset:         136
        .size:           8
        .value_kind:     hidden_global_offset_y
      - .offset:         144
        .size:           8
        .value_kind:     hidden_global_offset_z
      - .offset:         152
        .size:           2
        .value_kind:     hidden_grid_dims
      - .offset:         168
        .size:           8
        .value_kind:     hidden_hostcall_buffer
    .group_segment_fixed_size: 0
    .kernarg_segment_align: 8
    .kernarg_segment_size: 344
    .language:       OpenCL C
    .language_version:
      - 2
      - 0
    .max_flat_workgroup_size: 1024
    .name:           Transform_H_H_001_16_16_VW_1
    .private_segment_fixed_size: 64
    .sgpr_count:     40
    .sgpr_spill_count: 0
    .symbol:         Transform_H_H_001_16_16_VW_1.kd
    .uniform_work_group_size: 1
    .uses_dynamic_stack: false
    .vgpr_count:     42
    .vgpr_spill_count: 0
    .wavefront_size: 64
  - .args:
      - .address_space:  global
        .offset:         0
        .size:           8
        .value_kind:     global_buffer
      - .address_space:  global
        .offset:         8
        .size:           8
        .value_kind:     global_buffer
      - .address_space:  global
        .offset:         16
        .size:           8
        .value_kind:     global_buffer
      - .offset:         24
        .size:           2
        .value_kind:     by_value
      - .address_space:  global
        .offset:         32
        .size:           8
        .value_kind:     global_buffer
      - .offset:         40
        .size:           2
        .value_kind:     by_value
      - .address_space:  global
        .offset:         48
        .size:           8
        .value_kind:     global_buffer
      - .offset:         56
        .size:           4
        .value_kind:     by_value
      - .offset:         60
        .size:           4
        .value_kind:     by_value
      - .offset:         64
        .size:           4
        .value_kind:     by_value
      - .offset:         68
        .size:           4
        .value_kind:     by_value
      - .offset:         72
        .size:           4
        .value_kind:     by_value
      - .offset:         76
        .size:           4
        .value_kind:     by_value
      - .offset:         80
        .size:           1
        .value_kind:     by_value
      - .offset:         81
        .size:           1
        .value_kind:     by_value
      - .offset:         88
        .size:           4
        .value_kind:     hidden_block_count_x
      - .offset:         92
        .size:           4
        .value_kind:     hidden_block_count_y
      - .offset:         96
        .size:           4
        .value_kind:     hidden_block_count_z
      - .offset:         100
        .size:           2
        .value_kind:     hidden_group_size_x
      - .offset:         102
        .size:           2
        .value_kind:     hidden_group_size_y
      - .offset:         104
        .size:           2
        .value_kind:     hidden_group_size_z
      - .offset:         106
        .size:           2
        .value_kind:     hidden_remainder_x
      - .offset:         108
        .size:           2
        .value_kind:     hidden_remainder_y
      - .offset:         110
        .size:           2
        .value_kind:     hidden_remainder_z
      - .offset:         128
        .size:           8
        .value_kind:     hidden_global_offset_x
      - .offset:         136
        .size:           8
        .value_kind:     hidden_global_offset_y
      - .offset:         144
        .size:           8
        .value_kind:     hidden_global_offset_z
      - .offset:         152
        .size:           2
        .value_kind:     hidden_grid_dims
      - .offset:         168
        .size:           8
        .value_kind:     hidden_hostcall_buffer
    .group_segment_fixed_size: 0
    .kernarg_segment_align: 8
    .kernarg_segment_size: 344
    .language:       OpenCL C
    .language_version:
      - 2
      - 0
    .max_flat_workgroup_size: 1024
    .name:           Transform_H_H_001_16_16_VW_4
    .private_segment_fixed_size: 64
    .sgpr_count:     40
    .sgpr_spill_count: 0
    .symbol:         Transform_H_H_001_16_16_VW_4.kd
    .uniform_work_group_size: 1
    .uses_dynamic_stack: false
    .vgpr_count:     42
    .vgpr_spill_count: 0
    .wavefront_size: 64
  - .args:
      - .address_space:  global
        .offset:         0
        .size:           8
        .value_kind:     global_buffer
      - .address_space:  global
        .offset:         8
        .size:           8
        .value_kind:     global_buffer
      - .address_space:  global
        .offset:         16
        .size:           8
        .value_kind:     global_buffer
      - .offset:         24
        .size:           2
        .value_kind:     by_value
      - .address_space:  global
        .offset:         32
        .size:           8
        .value_kind:     global_buffer
      - .offset:         40
        .size:           2
        .value_kind:     by_value
      - .address_space:  global
        .offset:         48
        .size:           8
        .value_kind:     global_buffer
      - .offset:         56
        .size:           4
        .value_kind:     by_value
      - .offset:         60
        .size:           4
        .value_kind:     by_value
      - .offset:         64
        .size:           4
        .value_kind:     by_value
      - .offset:         68
        .size:           4
        .value_kind:     by_value
      - .offset:         72
        .size:           4
        .value_kind:     by_value
      - .offset:         76
        .size:           4
        .value_kind:     by_value
      - .offset:         80
        .size:           1
        .value_kind:     by_value
      - .offset:         81
        .size:           1
        .value_kind:     by_value
      - .offset:         88
        .size:           4
        .value_kind:     hidden_block_count_x
      - .offset:         92
        .size:           4
        .value_kind:     hidden_block_count_y
      - .offset:         96
        .size:           4
        .value_kind:     hidden_block_count_z
      - .offset:         100
        .size:           2
        .value_kind:     hidden_group_size_x
      - .offset:         102
        .size:           2
        .value_kind:     hidden_group_size_y
      - .offset:         104
        .size:           2
        .value_kind:     hidden_group_size_z
      - .offset:         106
        .size:           2
        .value_kind:     hidden_remainder_x
      - .offset:         108
        .size:           2
        .value_kind:     hidden_remainder_y
      - .offset:         110
        .size:           2
        .value_kind:     hidden_remainder_z
      - .offset:         128
        .size:           8
        .value_kind:     hidden_global_offset_x
      - .offset:         136
        .size:           8
        .value_kind:     hidden_global_offset_y
      - .offset:         144
        .size:           8
        .value_kind:     hidden_global_offset_z
      - .offset:         152
        .size:           2
        .value_kind:     hidden_grid_dims
      - .offset:         168
        .size:           8
        .value_kind:     hidden_hostcall_buffer
    .group_segment_fixed_size: 0
    .kernarg_segment_align: 8
    .kernarg_segment_size: 344
    .language:       OpenCL C
    .language_version:
      - 2
      - 0
    .max_flat_workgroup_size: 1024
    .name:           Transform_H_H_000_16_16_VW_1
    .private_segment_fixed_size: 64
    .sgpr_count:     40
    .sgpr_spill_count: 0
    .symbol:         Transform_H_H_000_16_16_VW_1.kd
    .uniform_work_group_size: 1
    .uses_dynamic_stack: false
    .vgpr_count:     42
    .vgpr_spill_count: 0
    .wavefront_size: 64
  - .args:
      - .address_space:  global
        .offset:         0
        .size:           8
        .value_kind:     global_buffer
      - .address_space:  global
        .offset:         8
        .size:           8
        .value_kind:     global_buffer
      - .address_space:  global
        .offset:         16
        .size:           8
        .value_kind:     global_buffer
      - .offset:         24
        .size:           2
        .value_kind:     by_value
      - .address_space:  global
        .offset:         32
        .size:           8
        .value_kind:     global_buffer
      - .offset:         40
        .size:           2
        .value_kind:     by_value
      - .address_space:  global
        .offset:         48
        .size:           8
        .value_kind:     global_buffer
      - .offset:         56
        .size:           4
        .value_kind:     by_value
      - .offset:         60
        .size:           4
        .value_kind:     by_value
      - .offset:         64
        .size:           4
        .value_kind:     by_value
      - .offset:         68
        .size:           4
        .value_kind:     by_value
      - .offset:         72
        .size:           4
        .value_kind:     by_value
      - .offset:         76
        .size:           4
        .value_kind:     by_value
      - .offset:         80
        .size:           1
        .value_kind:     by_value
      - .offset:         81
        .size:           1
        .value_kind:     by_value
      - .offset:         88
        .size:           4
        .value_kind:     hidden_block_count_x
      - .offset:         92
        .size:           4
        .value_kind:     hidden_block_count_y
      - .offset:         96
        .size:           4
        .value_kind:     hidden_block_count_z
      - .offset:         100
        .size:           2
        .value_kind:     hidden_group_size_x
      - .offset:         102
        .size:           2
        .value_kind:     hidden_group_size_y
      - .offset:         104
        .size:           2
        .value_kind:     hidden_group_size_z
      - .offset:         106
        .size:           2
        .value_kind:     hidden_remainder_x
      - .offset:         108
        .size:           2
        .value_kind:     hidden_remainder_y
      - .offset:         110
        .size:           2
        .value_kind:     hidden_remainder_z
      - .offset:         128
        .size:           8
        .value_kind:     hidden_global_offset_x
      - .offset:         136
        .size:           8
        .value_kind:     hidden_global_offset_y
      - .offset:         144
        .size:           8
        .value_kind:     hidden_global_offset_z
      - .offset:         152
        .size:           2
        .value_kind:     hidden_grid_dims
      - .offset:         168
        .size:           8
        .value_kind:     hidden_hostcall_buffer
    .group_segment_fixed_size: 0
    .kernarg_segment_align: 8
    .kernarg_segment_size: 344
    .language:       OpenCL C
    .language_version:
      - 2
      - 0
    .max_flat_workgroup_size: 1024
    .name:           Transform_H_H_000_16_16_VW_4
    .private_segment_fixed_size: 64
    .sgpr_count:     40
    .sgpr_spill_count: 0
    .symbol:         Transform_H_H_000_16_16_VW_4.kd
    .uniform_work_group_size: 1
    .uses_dynamic_stack: false
    .vgpr_count:     42
    .vgpr_spill_count: 0
    .wavefront_size: 64
  - .args:
      - .address_space:  global
        .offset:         0
        .size:           8
        .value_kind:     global_buffer
      - .address_space:  global
        .offset:         8
        .size:           8
        .value_kind:     global_buffer
      - .address_space:  global
        .offset:         16
        .size:           8
        .value_kind:     global_buffer
      - .offset:         24
        .size:           4
        .value_kind:     by_value
      - .address_space:  global
        .offset:         32
        .size:           8
        .value_kind:     global_buffer
      - .offset:         40
        .size:           4
        .value_kind:     by_value
      - .address_space:  global
        .offset:         48
        .size:           8
        .value_kind:     global_buffer
      - .offset:         56
        .size:           4
        .value_kind:     by_value
      - .offset:         60
        .size:           4
        .value_kind:     by_value
      - .offset:         64
        .size:           4
        .value_kind:     by_value
      - .offset:         68
        .size:           4
        .value_kind:     by_value
      - .offset:         72
        .size:           4
        .value_kind:     by_value
      - .offset:         76
        .size:           4
        .value_kind:     by_value
      - .offset:         80
        .size:           1
        .value_kind:     by_value
      - .offset:         81
        .size:           1
        .value_kind:     by_value
      - .offset:         88
        .size:           4
        .value_kind:     hidden_block_count_x
      - .offset:         92
        .size:           4
        .value_kind:     hidden_block_count_y
      - .offset:         96
        .size:           4
        .value_kind:     hidden_block_count_z
      - .offset:         100
        .size:           2
        .value_kind:     hidden_group_size_x
      - .offset:         102
        .size:           2
        .value_kind:     hidden_group_size_y
      - .offset:         104
        .size:           2
        .value_kind:     hidden_group_size_z
      - .offset:         106
        .size:           2
        .value_kind:     hidden_remainder_x
      - .offset:         108
        .size:           2
        .value_kind:     hidden_remainder_y
      - .offset:         110
        .size:           2
        .value_kind:     hidden_remainder_z
      - .offset:         128
        .size:           8
        .value_kind:     hidden_global_offset_x
      - .offset:         136
        .size:           8
        .value_kind:     hidden_global_offset_y
      - .offset:         144
        .size:           8
        .value_kind:     hidden_global_offset_z
      - .offset:         152
        .size:           2
        .value_kind:     hidden_grid_dims
      - .offset:         168
        .size:           8
        .value_kind:     hidden_hostcall_buffer
    .group_segment_fixed_size: 0
    .kernarg_segment_align: 8
    .kernarg_segment_size: 344
    .language:       OpenCL C
    .language_version:
      - 2
      - 0
    .max_flat_workgroup_size: 1024
    .name:           Transform_H_S_111_16_16_VW_1
    .private_segment_fixed_size: 64
    .sgpr_count:     40
    .sgpr_spill_count: 0
    .symbol:         Transform_H_S_111_16_16_VW_1.kd
    .uniform_work_group_size: 1
    .uses_dynamic_stack: false
    .vgpr_count:     42
    .vgpr_spill_count: 0
    .wavefront_size: 64
  - .args:
      - .address_space:  global
        .offset:         0
        .size:           8
        .value_kind:     global_buffer
      - .address_space:  global
        .offset:         8
        .size:           8
        .value_kind:     global_buffer
      - .address_space:  global
        .offset:         16
        .size:           8
        .value_kind:     global_buffer
      - .offset:         24
        .size:           4
        .value_kind:     by_value
      - .address_space:  global
        .offset:         32
        .size:           8
        .value_kind:     global_buffer
      - .offset:         40
        .size:           4
        .value_kind:     by_value
      - .address_space:  global
        .offset:         48
        .size:           8
        .value_kind:     global_buffer
      - .offset:         56
        .size:           4
        .value_kind:     by_value
      - .offset:         60
        .size:           4
        .value_kind:     by_value
      - .offset:         64
        .size:           4
        .value_kind:     by_value
      - .offset:         68
        .size:           4
        .value_kind:     by_value
      - .offset:         72
        .size:           4
        .value_kind:     by_value
      - .offset:         76
        .size:           4
        .value_kind:     by_value
      - .offset:         80
        .size:           1
        .value_kind:     by_value
      - .offset:         81
        .size:           1
        .value_kind:     by_value
      - .offset:         88
        .size:           4
        .value_kind:     hidden_block_count_x
      - .offset:         92
        .size:           4
        .value_kind:     hidden_block_count_y
      - .offset:         96
        .size:           4
        .value_kind:     hidden_block_count_z
      - .offset:         100
        .size:           2
        .value_kind:     hidden_group_size_x
      - .offset:         102
        .size:           2
        .value_kind:     hidden_group_size_y
      - .offset:         104
        .size:           2
        .value_kind:     hidden_group_size_z
      - .offset:         106
        .size:           2
        .value_kind:     hidden_remainder_x
      - .offset:         108
        .size:           2
        .value_kind:     hidden_remainder_y
      - .offset:         110
        .size:           2
        .value_kind:     hidden_remainder_z
      - .offset:         128
        .size:           8
        .value_kind:     hidden_global_offset_x
      - .offset:         136
        .size:           8
        .value_kind:     hidden_global_offset_y
      - .offset:         144
        .size:           8
        .value_kind:     hidden_global_offset_z
      - .offset:         152
        .size:           2
        .value_kind:     hidden_grid_dims
      - .offset:         168
        .size:           8
        .value_kind:     hidden_hostcall_buffer
    .group_segment_fixed_size: 0
    .kernarg_segment_align: 8
    .kernarg_segment_size: 344
    .language:       OpenCL C
    .language_version:
      - 2
      - 0
    .max_flat_workgroup_size: 1024
    .name:           Transform_H_S_111_16_16_VW_4
    .private_segment_fixed_size: 64
    .sgpr_count:     40
    .sgpr_spill_count: 0
    .symbol:         Transform_H_S_111_16_16_VW_4.kd
    .uniform_work_group_size: 1
    .uses_dynamic_stack: false
    .vgpr_count:     42
    .vgpr_spill_count: 0
    .wavefront_size: 64
  - .args:
      - .address_space:  global
        .offset:         0
        .size:           8
        .value_kind:     global_buffer
      - .address_space:  global
        .offset:         8
        .size:           8
        .value_kind:     global_buffer
      - .address_space:  global
        .offset:         16
        .size:           8
        .value_kind:     global_buffer
      - .offset:         24
        .size:           4
        .value_kind:     by_value
      - .address_space:  global
        .offset:         32
        .size:           8
        .value_kind:     global_buffer
      - .offset:         40
        .size:           4
        .value_kind:     by_value
      - .address_space:  global
        .offset:         48
        .size:           8
        .value_kind:     global_buffer
      - .offset:         56
        .size:           4
        .value_kind:     by_value
      - .offset:         60
        .size:           4
        .value_kind:     by_value
      - .offset:         64
        .size:           4
        .value_kind:     by_value
      - .offset:         68
        .size:           4
        .value_kind:     by_value
      - .offset:         72
        .size:           4
        .value_kind:     by_value
      - .offset:         76
        .size:           4
        .value_kind:     by_value
      - .offset:         80
        .size:           1
        .value_kind:     by_value
      - .offset:         81
        .size:           1
        .value_kind:     by_value
      - .offset:         88
        .size:           4
        .value_kind:     hidden_block_count_x
      - .offset:         92
        .size:           4
        .value_kind:     hidden_block_count_y
      - .offset:         96
        .size:           4
        .value_kind:     hidden_block_count_z
      - .offset:         100
        .size:           2
        .value_kind:     hidden_group_size_x
      - .offset:         102
        .size:           2
        .value_kind:     hidden_group_size_y
      - .offset:         104
        .size:           2
        .value_kind:     hidden_group_size_z
      - .offset:         106
        .size:           2
        .value_kind:     hidden_remainder_x
      - .offset:         108
        .size:           2
        .value_kind:     hidden_remainder_y
      - .offset:         110
        .size:           2
        .value_kind:     hidden_remainder_z
      - .offset:         128
        .size:           8
        .value_kind:     hidden_global_offset_x
      - .offset:         136
        .size:           8
        .value_kind:     hidden_global_offset_y
      - .offset:         144
        .size:           8
        .value_kind:     hidden_global_offset_z
      - .offset:         152
        .size:           2
        .value_kind:     hidden_grid_dims
      - .offset:         168
        .size:           8
        .value_kind:     hidden_hostcall_buffer
    .group_segment_fixed_size: 0
    .kernarg_segment_align: 8
    .kernarg_segment_size: 344
    .language:       OpenCL C
    .language_version:
      - 2
      - 0
    .max_flat_workgroup_size: 1024
    .name:           Transform_H_S_110_16_16_VW_1
    .private_segment_fixed_size: 64
    .sgpr_count:     40
    .sgpr_spill_count: 0
    .symbol:         Transform_H_S_110_16_16_VW_1.kd
    .uniform_work_group_size: 1
    .uses_dynamic_stack: false
    .vgpr_count:     42
    .vgpr_spill_count: 0
    .wavefront_size: 64
  - .args:
      - .address_space:  global
        .offset:         0
        .size:           8
        .value_kind:     global_buffer
      - .address_space:  global
        .offset:         8
        .size:           8
        .value_kind:     global_buffer
      - .address_space:  global
        .offset:         16
        .size:           8
        .value_kind:     global_buffer
      - .offset:         24
        .size:           4
        .value_kind:     by_value
      - .address_space:  global
        .offset:         32
        .size:           8
        .value_kind:     global_buffer
      - .offset:         40
        .size:           4
        .value_kind:     by_value
      - .address_space:  global
        .offset:         48
        .size:           8
        .value_kind:     global_buffer
      - .offset:         56
        .size:           4
        .value_kind:     by_value
      - .offset:         60
        .size:           4
        .value_kind:     by_value
      - .offset:         64
        .size:           4
        .value_kind:     by_value
      - .offset:         68
        .size:           4
        .value_kind:     by_value
      - .offset:         72
        .size:           4
        .value_kind:     by_value
      - .offset:         76
        .size:           4
        .value_kind:     by_value
      - .offset:         80
        .size:           1
        .value_kind:     by_value
      - .offset:         81
        .size:           1
        .value_kind:     by_value
      - .offset:         88
        .size:           4
        .value_kind:     hidden_block_count_x
      - .offset:         92
        .size:           4
        .value_kind:     hidden_block_count_y
      - .offset:         96
        .size:           4
        .value_kind:     hidden_block_count_z
      - .offset:         100
        .size:           2
        .value_kind:     hidden_group_size_x
      - .offset:         102
        .size:           2
        .value_kind:     hidden_group_size_y
      - .offset:         104
        .size:           2
        .value_kind:     hidden_group_size_z
      - .offset:         106
        .size:           2
        .value_kind:     hidden_remainder_x
      - .offset:         108
        .size:           2
        .value_kind:     hidden_remainder_y
      - .offset:         110
        .size:           2
        .value_kind:     hidden_remainder_z
      - .offset:         128
        .size:           8
        .value_kind:     hidden_global_offset_x
      - .offset:         136
        .size:           8
        .value_kind:     hidden_global_offset_y
      - .offset:         144
        .size:           8
        .value_kind:     hidden_global_offset_z
      - .offset:         152
        .size:           2
        .value_kind:     hidden_grid_dims
      - .offset:         168
        .size:           8
        .value_kind:     hidden_hostcall_buffer
    .group_segment_fixed_size: 0
    .kernarg_segment_align: 8
    .kernarg_segment_size: 344
    .language:       OpenCL C
    .language_version:
      - 2
      - 0
    .max_flat_workgroup_size: 1024
    .name:           Transform_H_S_110_16_16_VW_4
    .private_segment_fixed_size: 64
    .sgpr_count:     40
    .sgpr_spill_count: 0
    .symbol:         Transform_H_S_110_16_16_VW_4.kd
    .uniform_work_group_size: 1
    .uses_dynamic_stack: false
    .vgpr_count:     42
    .vgpr_spill_count: 0
    .wavefront_size: 64
  - .args:
      - .address_space:  global
        .offset:         0
        .size:           8
        .value_kind:     global_buffer
      - .address_space:  global
        .offset:         8
        .size:           8
        .value_kind:     global_buffer
      - .address_space:  global
        .offset:         16
        .size:           8
        .value_kind:     global_buffer
      - .offset:         24
        .size:           4
        .value_kind:     by_value
      - .address_space:  global
        .offset:         32
        .size:           8
        .value_kind:     global_buffer
      - .offset:         40
        .size:           4
        .value_kind:     by_value
      - .address_space:  global
        .offset:         48
        .size:           8
        .value_kind:     global_buffer
      - .offset:         56
        .size:           4
        .value_kind:     by_value
      - .offset:         60
        .size:           4
        .value_kind:     by_value
      - .offset:         64
        .size:           4
        .value_kind:     by_value
      - .offset:         68
        .size:           4
        .value_kind:     by_value
      - .offset:         72
        .size:           4
        .value_kind:     by_value
      - .offset:         76
        .size:           4
        .value_kind:     by_value
      - .offset:         80
        .size:           1
        .value_kind:     by_value
      - .offset:         81
        .size:           1
        .value_kind:     by_value
      - .offset:         88
        .size:           4
        .value_kind:     hidden_block_count_x
      - .offset:         92
        .size:           4
        .value_kind:     hidden_block_count_y
      - .offset:         96
        .size:           4
        .value_kind:     hidden_block_count_z
      - .offset:         100
        .size:           2
        .value_kind:     hidden_group_size_x
      - .offset:         102
        .size:           2
        .value_kind:     hidden_group_size_y
      - .offset:         104
        .size:           2
        .value_kind:     hidden_group_size_z
      - .offset:         106
        .size:           2
        .value_kind:     hidden_remainder_x
      - .offset:         108
        .size:           2
        .value_kind:     hidden_remainder_y
      - .offset:         110
        .size:           2
        .value_kind:     hidden_remainder_z
      - .offset:         128
        .size:           8
        .value_kind:     hidden_global_offset_x
      - .offset:         136
        .size:           8
        .value_kind:     hidden_global_offset_y
      - .offset:         144
        .size:           8
        .value_kind:     hidden_global_offset_z
      - .offset:         152
        .size:           2
        .value_kind:     hidden_grid_dims
      - .offset:         168
        .size:           8
        .value_kind:     hidden_hostcall_buffer
    .group_segment_fixed_size: 0
    .kernarg_segment_align: 8
    .kernarg_segment_size: 344
    .language:       OpenCL C
    .language_version:
      - 2
      - 0
    .max_flat_workgroup_size: 1024
    .name:           Transform_H_S_101_16_16_VW_1
    .private_segment_fixed_size: 64
    .sgpr_count:     40
    .sgpr_spill_count: 0
    .symbol:         Transform_H_S_101_16_16_VW_1.kd
    .uniform_work_group_size: 1
    .uses_dynamic_stack: false
    .vgpr_count:     42
    .vgpr_spill_count: 0
    .wavefront_size: 64
  - .args:
      - .address_space:  global
        .offset:         0
        .size:           8
        .value_kind:     global_buffer
      - .address_space:  global
        .offset:         8
        .size:           8
        .value_kind:     global_buffer
      - .address_space:  global
        .offset:         16
        .size:           8
        .value_kind:     global_buffer
      - .offset:         24
        .size:           4
        .value_kind:     by_value
      - .address_space:  global
        .offset:         32
        .size:           8
        .value_kind:     global_buffer
      - .offset:         40
        .size:           4
        .value_kind:     by_value
      - .address_space:  global
        .offset:         48
        .size:           8
        .value_kind:     global_buffer
      - .offset:         56
        .size:           4
        .value_kind:     by_value
      - .offset:         60
        .size:           4
        .value_kind:     by_value
      - .offset:         64
        .size:           4
        .value_kind:     by_value
      - .offset:         68
        .size:           4
        .value_kind:     by_value
      - .offset:         72
        .size:           4
        .value_kind:     by_value
      - .offset:         76
        .size:           4
        .value_kind:     by_value
      - .offset:         80
        .size:           1
        .value_kind:     by_value
      - .offset:         81
        .size:           1
        .value_kind:     by_value
      - .offset:         88
        .size:           4
        .value_kind:     hidden_block_count_x
      - .offset:         92
        .size:           4
        .value_kind:     hidden_block_count_y
      - .offset:         96
        .size:           4
        .value_kind:     hidden_block_count_z
      - .offset:         100
        .size:           2
        .value_kind:     hidden_group_size_x
      - .offset:         102
        .size:           2
        .value_kind:     hidden_group_size_y
      - .offset:         104
        .size:           2
        .value_kind:     hidden_group_size_z
      - .offset:         106
        .size:           2
        .value_kind:     hidden_remainder_x
      - .offset:         108
        .size:           2
        .value_kind:     hidden_remainder_y
      - .offset:         110
        .size:           2
        .value_kind:     hidden_remainder_z
      - .offset:         128
        .size:           8
        .value_kind:     hidden_global_offset_x
      - .offset:         136
        .size:           8
        .value_kind:     hidden_global_offset_y
      - .offset:         144
        .size:           8
        .value_kind:     hidden_global_offset_z
      - .offset:         152
        .size:           2
        .value_kind:     hidden_grid_dims
      - .offset:         168
        .size:           8
        .value_kind:     hidden_hostcall_buffer
    .group_segment_fixed_size: 0
    .kernarg_segment_align: 8
    .kernarg_segment_size: 344
    .language:       OpenCL C
    .language_version:
      - 2
      - 0
    .max_flat_workgroup_size: 1024
    .name:           Transform_H_S_101_16_16_VW_4
    .private_segment_fixed_size: 64
    .sgpr_count:     40
    .sgpr_spill_count: 0
    .symbol:         Transform_H_S_101_16_16_VW_4.kd
    .uniform_work_group_size: 1
    .uses_dynamic_stack: false
    .vgpr_count:     42
    .vgpr_spill_count: 0
    .wavefront_size: 64
  - .args:
      - .address_space:  global
        .offset:         0
        .size:           8
        .value_kind:     global_buffer
      - .address_space:  global
        .offset:         8
        .size:           8
        .value_kind:     global_buffer
      - .address_space:  global
        .offset:         16
        .size:           8
        .value_kind:     global_buffer
      - .offset:         24
        .size:           4
        .value_kind:     by_value
      - .address_space:  global
        .offset:         32
        .size:           8
        .value_kind:     global_buffer
      - .offset:         40
        .size:           4
        .value_kind:     by_value
      - .address_space:  global
        .offset:         48
        .size:           8
        .value_kind:     global_buffer
      - .offset:         56
        .size:           4
        .value_kind:     by_value
      - .offset:         60
        .size:           4
        .value_kind:     by_value
      - .offset:         64
        .size:           4
        .value_kind:     by_value
      - .offset:         68
        .size:           4
        .value_kind:     by_value
      - .offset:         72
        .size:           4
        .value_kind:     by_value
      - .offset:         76
        .size:           4
        .value_kind:     by_value
      - .offset:         80
        .size:           1
        .value_kind:     by_value
      - .offset:         81
        .size:           1
        .value_kind:     by_value
      - .offset:         88
        .size:           4
        .value_kind:     hidden_block_count_x
      - .offset:         92
        .size:           4
        .value_kind:     hidden_block_count_y
      - .offset:         96
        .size:           4
        .value_kind:     hidden_block_count_z
      - .offset:         100
        .size:           2
        .value_kind:     hidden_group_size_x
      - .offset:         102
        .size:           2
        .value_kind:     hidden_group_size_y
      - .offset:         104
        .size:           2
        .value_kind:     hidden_group_size_z
      - .offset:         106
        .size:           2
        .value_kind:     hidden_remainder_x
      - .offset:         108
        .size:           2
        .value_kind:     hidden_remainder_y
      - .offset:         110
        .size:           2
        .value_kind:     hidden_remainder_z
      - .offset:         128
        .size:           8
        .value_kind:     hidden_global_offset_x
      - .offset:         136
        .size:           8
        .value_kind:     hidden_global_offset_y
      - .offset:         144
        .size:           8
        .value_kind:     hidden_global_offset_z
      - .offset:         152
        .size:           2
        .value_kind:     hidden_grid_dims
      - .offset:         168
        .size:           8
        .value_kind:     hidden_hostcall_buffer
    .group_segment_fixed_size: 0
    .kernarg_segment_align: 8
    .kernarg_segment_size: 344
    .language:       OpenCL C
    .language_version:
      - 2
      - 0
    .max_flat_workgroup_size: 1024
    .name:           Transform_H_S_100_16_16_VW_1
    .private_segment_fixed_size: 64
    .sgpr_count:     40
    .sgpr_spill_count: 0
    .symbol:         Transform_H_S_100_16_16_VW_1.kd
    .uniform_work_group_size: 1
    .uses_dynamic_stack: false
    .vgpr_count:     42
    .vgpr_spill_count: 0
    .wavefront_size: 64
  - .args:
      - .address_space:  global
        .offset:         0
        .size:           8
        .value_kind:     global_buffer
      - .address_space:  global
        .offset:         8
        .size:           8
        .value_kind:     global_buffer
      - .address_space:  global
        .offset:         16
        .size:           8
        .value_kind:     global_buffer
      - .offset:         24
        .size:           4
        .value_kind:     by_value
      - .address_space:  global
        .offset:         32
        .size:           8
        .value_kind:     global_buffer
      - .offset:         40
        .size:           4
        .value_kind:     by_value
      - .address_space:  global
        .offset:         48
        .size:           8
        .value_kind:     global_buffer
      - .offset:         56
        .size:           4
        .value_kind:     by_value
      - .offset:         60
        .size:           4
        .value_kind:     by_value
      - .offset:         64
        .size:           4
        .value_kind:     by_value
      - .offset:         68
        .size:           4
        .value_kind:     by_value
      - .offset:         72
        .size:           4
        .value_kind:     by_value
      - .offset:         76
        .size:           4
        .value_kind:     by_value
      - .offset:         80
        .size:           1
        .value_kind:     by_value
      - .offset:         81
        .size:           1
        .value_kind:     by_value
      - .offset:         88
        .size:           4
        .value_kind:     hidden_block_count_x
      - .offset:         92
        .size:           4
        .value_kind:     hidden_block_count_y
      - .offset:         96
        .size:           4
        .value_kind:     hidden_block_count_z
      - .offset:         100
        .size:           2
        .value_kind:     hidden_group_size_x
      - .offset:         102
        .size:           2
        .value_kind:     hidden_group_size_y
      - .offset:         104
        .size:           2
        .value_kind:     hidden_group_size_z
      - .offset:         106
        .size:           2
        .value_kind:     hidden_remainder_x
      - .offset:         108
        .size:           2
        .value_kind:     hidden_remainder_y
      - .offset:         110
        .size:           2
        .value_kind:     hidden_remainder_z
      - .offset:         128
        .size:           8
        .value_kind:     hidden_global_offset_x
      - .offset:         136
        .size:           8
        .value_kind:     hidden_global_offset_y
      - .offset:         144
        .size:           8
        .value_kind:     hidden_global_offset_z
      - .offset:         152
        .size:           2
        .value_kind:     hidden_grid_dims
      - .offset:         168
        .size:           8
        .value_kind:     hidden_hostcall_buffer
    .group_segment_fixed_size: 0
    .kernarg_segment_align: 8
    .kernarg_segment_size: 344
    .language:       OpenCL C
    .language_version:
      - 2
      - 0
    .max_flat_workgroup_size: 1024
    .name:           Transform_H_S_100_16_16_VW_4
    .private_segment_fixed_size: 64
    .sgpr_count:     40
    .sgpr_spill_count: 0
    .symbol:         Transform_H_S_100_16_16_VW_4.kd
    .uniform_work_group_size: 1
    .uses_dynamic_stack: false
    .vgpr_count:     42
    .vgpr_spill_count: 0
    .wavefront_size: 64
  - .args:
      - .address_space:  global
        .offset:         0
        .size:           8
        .value_kind:     global_buffer
      - .address_space:  global
        .offset:         8
        .size:           8
        .value_kind:     global_buffer
      - .address_space:  global
        .offset:         16
        .size:           8
        .value_kind:     global_buffer
      - .offset:         24
        .size:           4
        .value_kind:     by_value
      - .address_space:  global
        .offset:         32
        .size:           8
        .value_kind:     global_buffer
      - .offset:         40
        .size:           4
        .value_kind:     by_value
      - .address_space:  global
        .offset:         48
        .size:           8
        .value_kind:     global_buffer
      - .offset:         56
        .size:           4
        .value_kind:     by_value
      - .offset:         60
        .size:           4
        .value_kind:     by_value
      - .offset:         64
        .size:           4
        .value_kind:     by_value
      - .offset:         68
        .size:           4
        .value_kind:     by_value
      - .offset:         72
        .size:           4
        .value_kind:     by_value
      - .offset:         76
        .size:           4
        .value_kind:     by_value
      - .offset:         80
        .size:           1
        .value_kind:     by_value
      - .offset:         81
        .size:           1
        .value_kind:     by_value
      - .offset:         88
        .size:           4
        .value_kind:     hidden_block_count_x
      - .offset:         92
        .size:           4
        .value_kind:     hidden_block_count_y
      - .offset:         96
        .size:           4
        .value_kind:     hidden_block_count_z
      - .offset:         100
        .size:           2
        .value_kind:     hidden_group_size_x
      - .offset:         102
        .size:           2
        .value_kind:     hidden_group_size_y
      - .offset:         104
        .size:           2
        .value_kind:     hidden_group_size_z
      - .offset:         106
        .size:           2
        .value_kind:     hidden_remainder_x
      - .offset:         108
        .size:           2
        .value_kind:     hidden_remainder_y
      - .offset:         110
        .size:           2
        .value_kind:     hidden_remainder_z
      - .offset:         128
        .size:           8
        .value_kind:     hidden_global_offset_x
      - .offset:         136
        .size:           8
        .value_kind:     hidden_global_offset_y
      - .offset:         144
        .size:           8
        .value_kind:     hidden_global_offset_z
      - .offset:         152
        .size:           2
        .value_kind:     hidden_grid_dims
      - .offset:         168
        .size:           8
        .value_kind:     hidden_hostcall_buffer
    .group_segment_fixed_size: 0
    .kernarg_segment_align: 8
    .kernarg_segment_size: 344
    .language:       OpenCL C
    .language_version:
      - 2
      - 0
    .max_flat_workgroup_size: 1024
    .name:           Transform_H_S_011_16_16_VW_1
    .private_segment_fixed_size: 64
    .sgpr_count:     40
    .sgpr_spill_count: 0
    .symbol:         Transform_H_S_011_16_16_VW_1.kd
    .uniform_work_group_size: 1
    .uses_dynamic_stack: false
    .vgpr_count:     42
    .vgpr_spill_count: 0
    .wavefront_size: 64
  - .args:
      - .address_space:  global
        .offset:         0
        .size:           8
        .value_kind:     global_buffer
      - .address_space:  global
        .offset:         8
        .size:           8
        .value_kind:     global_buffer
      - .address_space:  global
        .offset:         16
        .size:           8
        .value_kind:     global_buffer
      - .offset:         24
        .size:           4
        .value_kind:     by_value
      - .address_space:  global
        .offset:         32
        .size:           8
        .value_kind:     global_buffer
      - .offset:         40
        .size:           4
        .value_kind:     by_value
      - .address_space:  global
        .offset:         48
        .size:           8
        .value_kind:     global_buffer
      - .offset:         56
        .size:           4
        .value_kind:     by_value
      - .offset:         60
        .size:           4
        .value_kind:     by_value
      - .offset:         64
        .size:           4
        .value_kind:     by_value
      - .offset:         68
        .size:           4
        .value_kind:     by_value
      - .offset:         72
        .size:           4
        .value_kind:     by_value
      - .offset:         76
        .size:           4
        .value_kind:     by_value
      - .offset:         80
        .size:           1
        .value_kind:     by_value
      - .offset:         81
        .size:           1
        .value_kind:     by_value
      - .offset:         88
        .size:           4
        .value_kind:     hidden_block_count_x
      - .offset:         92
        .size:           4
        .value_kind:     hidden_block_count_y
      - .offset:         96
        .size:           4
        .value_kind:     hidden_block_count_z
      - .offset:         100
        .size:           2
        .value_kind:     hidden_group_size_x
      - .offset:         102
        .size:           2
        .value_kind:     hidden_group_size_y
      - .offset:         104
        .size:           2
        .value_kind:     hidden_group_size_z
      - .offset:         106
        .size:           2
        .value_kind:     hidden_remainder_x
      - .offset:         108
        .size:           2
        .value_kind:     hidden_remainder_y
      - .offset:         110
        .size:           2
        .value_kind:     hidden_remainder_z
      - .offset:         128
        .size:           8
        .value_kind:     hidden_global_offset_x
      - .offset:         136
        .size:           8
        .value_kind:     hidden_global_offset_y
      - .offset:         144
        .size:           8
        .value_kind:     hidden_global_offset_z
      - .offset:         152
        .size:           2
        .value_kind:     hidden_grid_dims
      - .offset:         168
        .size:           8
        .value_kind:     hidden_hostcall_buffer
    .group_segment_fixed_size: 0
    .kernarg_segment_align: 8
    .kernarg_segment_size: 344
    .language:       OpenCL C
    .language_version:
      - 2
      - 0
    .max_flat_workgroup_size: 1024
    .name:           Transform_H_S_011_16_16_VW_4
    .private_segment_fixed_size: 64
    .sgpr_count:     40
    .sgpr_spill_count: 0
    .symbol:         Transform_H_S_011_16_16_VW_4.kd
    .uniform_work_group_size: 1
    .uses_dynamic_stack: false
    .vgpr_count:     42
    .vgpr_spill_count: 0
    .wavefront_size: 64
  - .args:
      - .address_space:  global
        .offset:         0
        .size:           8
        .value_kind:     global_buffer
      - .address_space:  global
        .offset:         8
        .size:           8
        .value_kind:     global_buffer
      - .address_space:  global
        .offset:         16
        .size:           8
        .value_kind:     global_buffer
      - .offset:         24
        .size:           4
        .value_kind:     by_value
      - .address_space:  global
        .offset:         32
        .size:           8
        .value_kind:     global_buffer
      - .offset:         40
        .size:           4
        .value_kind:     by_value
      - .address_space:  global
        .offset:         48
        .size:           8
        .value_kind:     global_buffer
      - .offset:         56
        .size:           4
        .value_kind:     by_value
      - .offset:         60
        .size:           4
        .value_kind:     by_value
      - .offset:         64
        .size:           4
        .value_kind:     by_value
      - .offset:         68
        .size:           4
        .value_kind:     by_value
      - .offset:         72
        .size:           4
        .value_kind:     by_value
      - .offset:         76
        .size:           4
        .value_kind:     by_value
      - .offset:         80
        .size:           1
        .value_kind:     by_value
      - .offset:         81
        .size:           1
        .value_kind:     by_value
      - .offset:         88
        .size:           4
        .value_kind:     hidden_block_count_x
      - .offset:         92
        .size:           4
        .value_kind:     hidden_block_count_y
      - .offset:         96
        .size:           4
        .value_kind:     hidden_block_count_z
      - .offset:         100
        .size:           2
        .value_kind:     hidden_group_size_x
      - .offset:         102
        .size:           2
        .value_kind:     hidden_group_size_y
      - .offset:         104
        .size:           2
        .value_kind:     hidden_group_size_z
      - .offset:         106
        .size:           2
        .value_kind:     hidden_remainder_x
      - .offset:         108
        .size:           2
        .value_kind:     hidden_remainder_y
      - .offset:         110
        .size:           2
        .value_kind:     hidden_remainder_z
      - .offset:         128
        .size:           8
        .value_kind:     hidden_global_offset_x
      - .offset:         136
        .size:           8
        .value_kind:     hidden_global_offset_y
      - .offset:         144
        .size:           8
        .value_kind:     hidden_global_offset_z
      - .offset:         152
        .size:           2
        .value_kind:     hidden_grid_dims
      - .offset:         168
        .size:           8
        .value_kind:     hidden_hostcall_buffer
    .group_segment_fixed_size: 0
    .kernarg_segment_align: 8
    .kernarg_segment_size: 344
    .language:       OpenCL C
    .language_version:
      - 2
      - 0
    .max_flat_workgroup_size: 1024
    .name:           Transform_H_S_010_16_16_VW_1
    .private_segment_fixed_size: 64
    .sgpr_count:     40
    .sgpr_spill_count: 0
    .symbol:         Transform_H_S_010_16_16_VW_1.kd
    .uniform_work_group_size: 1
    .uses_dynamic_stack: false
    .vgpr_count:     42
    .vgpr_spill_count: 0
    .wavefront_size: 64
  - .args:
      - .address_space:  global
        .offset:         0
        .size:           8
        .value_kind:     global_buffer
      - .address_space:  global
        .offset:         8
        .size:           8
        .value_kind:     global_buffer
      - .address_space:  global
        .offset:         16
        .size:           8
        .value_kind:     global_buffer
      - .offset:         24
        .size:           4
        .value_kind:     by_value
      - .address_space:  global
        .offset:         32
        .size:           8
        .value_kind:     global_buffer
      - .offset:         40
        .size:           4
        .value_kind:     by_value
      - .address_space:  global
        .offset:         48
        .size:           8
        .value_kind:     global_buffer
      - .offset:         56
        .size:           4
        .value_kind:     by_value
      - .offset:         60
        .size:           4
        .value_kind:     by_value
      - .offset:         64
        .size:           4
        .value_kind:     by_value
      - .offset:         68
        .size:           4
        .value_kind:     by_value
      - .offset:         72
        .size:           4
        .value_kind:     by_value
      - .offset:         76
        .size:           4
        .value_kind:     by_value
      - .offset:         80
        .size:           1
        .value_kind:     by_value
      - .offset:         81
        .size:           1
        .value_kind:     by_value
      - .offset:         88
        .size:           4
        .value_kind:     hidden_block_count_x
      - .offset:         92
        .size:           4
        .value_kind:     hidden_block_count_y
      - .offset:         96
        .size:           4
        .value_kind:     hidden_block_count_z
      - .offset:         100
        .size:           2
        .value_kind:     hidden_group_size_x
      - .offset:         102
        .size:           2
        .value_kind:     hidden_group_size_y
      - .offset:         104
        .size:           2
        .value_kind:     hidden_group_size_z
      - .offset:         106
        .size:           2
        .value_kind:     hidden_remainder_x
      - .offset:         108
        .size:           2
        .value_kind:     hidden_remainder_y
      - .offset:         110
        .size:           2
        .value_kind:     hidden_remainder_z
      - .offset:         128
        .size:           8
        .value_kind:     hidden_global_offset_x
      - .offset:         136
        .size:           8
        .value_kind:     hidden_global_offset_y
      - .offset:         144
        .size:           8
        .value_kind:     hidden_global_offset_z
      - .offset:         152
        .size:           2
        .value_kind:     hidden_grid_dims
      - .offset:         168
        .size:           8
        .value_kind:     hidden_hostcall_buffer
    .group_segment_fixed_size: 0
    .kernarg_segment_align: 8
    .kernarg_segment_size: 344
    .language:       OpenCL C
    .language_version:
      - 2
      - 0
    .max_flat_workgroup_size: 1024
    .name:           Transform_H_S_010_16_16_VW_4
    .private_segment_fixed_size: 64
    .sgpr_count:     40
    .sgpr_spill_count: 0
    .symbol:         Transform_H_S_010_16_16_VW_4.kd
    .uniform_work_group_size: 1
    .uses_dynamic_stack: false
    .vgpr_count:     42
    .vgpr_spill_count: 0
    .wavefront_size: 64
  - .args:
      - .address_space:  global
        .offset:         0
        .size:           8
        .value_kind:     global_buffer
      - .address_space:  global
        .offset:         8
        .size:           8
        .value_kind:     global_buffer
      - .address_space:  global
        .offset:         16
        .size:           8
        .value_kind:     global_buffer
      - .offset:         24
        .size:           4
        .value_kind:     by_value
      - .address_space:  global
        .offset:         32
        .size:           8
        .value_kind:     global_buffer
      - .offset:         40
        .size:           4
        .value_kind:     by_value
      - .address_space:  global
        .offset:         48
        .size:           8
        .value_kind:     global_buffer
      - .offset:         56
        .size:           4
        .value_kind:     by_value
      - .offset:         60
        .size:           4
        .value_kind:     by_value
      - .offset:         64
        .size:           4
        .value_kind:     by_value
      - .offset:         68
        .size:           4
        .value_kind:     by_value
      - .offset:         72
        .size:           4
        .value_kind:     by_value
      - .offset:         76
        .size:           4
        .value_kind:     by_value
      - .offset:         80
        .size:           1
        .value_kind:     by_value
      - .offset:         81
        .size:           1
        .value_kind:     by_value
      - .offset:         88
        .size:           4
        .value_kind:     hidden_block_count_x
      - .offset:         92
        .size:           4
        .value_kind:     hidden_block_count_y
      - .offset:         96
        .size:           4
        .value_kind:     hidden_block_count_z
      - .offset:         100
        .size:           2
        .value_kind:     hidden_group_size_x
      - .offset:         102
        .size:           2
        .value_kind:     hidden_group_size_y
      - .offset:         104
        .size:           2
        .value_kind:     hidden_group_size_z
      - .offset:         106
        .size:           2
        .value_kind:     hidden_remainder_x
      - .offset:         108
        .size:           2
        .value_kind:     hidden_remainder_y
      - .offset:         110
        .size:           2
        .value_kind:     hidden_remainder_z
      - .offset:         128
        .size:           8
        .value_kind:     hidden_global_offset_x
      - .offset:         136
        .size:           8
        .value_kind:     hidden_global_offset_y
      - .offset:         144
        .size:           8
        .value_kind:     hidden_global_offset_z
      - .offset:         152
        .size:           2
        .value_kind:     hidden_grid_dims
      - .offset:         168
        .size:           8
        .value_kind:     hidden_hostcall_buffer
    .group_segment_fixed_size: 0
    .kernarg_segment_align: 8
    .kernarg_segment_size: 344
    .language:       OpenCL C
    .language_version:
      - 2
      - 0
    .max_flat_workgroup_size: 1024
    .name:           Transform_H_S_001_16_16_VW_1
    .private_segment_fixed_size: 64
    .sgpr_count:     40
    .sgpr_spill_count: 0
    .symbol:         Transform_H_S_001_16_16_VW_1.kd
    .uniform_work_group_size: 1
    .uses_dynamic_stack: false
    .vgpr_count:     42
    .vgpr_spill_count: 0
    .wavefront_size: 64
  - .args:
      - .address_space:  global
        .offset:         0
        .size:           8
        .value_kind:     global_buffer
      - .address_space:  global
        .offset:         8
        .size:           8
        .value_kind:     global_buffer
      - .address_space:  global
        .offset:         16
        .size:           8
        .value_kind:     global_buffer
      - .offset:         24
        .size:           4
        .value_kind:     by_value
      - .address_space:  global
        .offset:         32
        .size:           8
        .value_kind:     global_buffer
      - .offset:         40
        .size:           4
        .value_kind:     by_value
      - .address_space:  global
        .offset:         48
        .size:           8
        .value_kind:     global_buffer
      - .offset:         56
        .size:           4
        .value_kind:     by_value
      - .offset:         60
        .size:           4
        .value_kind:     by_value
      - .offset:         64
        .size:           4
        .value_kind:     by_value
      - .offset:         68
        .size:           4
        .value_kind:     by_value
      - .offset:         72
        .size:           4
        .value_kind:     by_value
      - .offset:         76
        .size:           4
        .value_kind:     by_value
      - .offset:         80
        .size:           1
        .value_kind:     by_value
      - .offset:         81
        .size:           1
        .value_kind:     by_value
      - .offset:         88
        .size:           4
        .value_kind:     hidden_block_count_x
      - .offset:         92
        .size:           4
        .value_kind:     hidden_block_count_y
      - .offset:         96
        .size:           4
        .value_kind:     hidden_block_count_z
      - .offset:         100
        .size:           2
        .value_kind:     hidden_group_size_x
      - .offset:         102
        .size:           2
        .value_kind:     hidden_group_size_y
      - .offset:         104
        .size:           2
        .value_kind:     hidden_group_size_z
      - .offset:         106
        .size:           2
        .value_kind:     hidden_remainder_x
      - .offset:         108
        .size:           2
        .value_kind:     hidden_remainder_y
      - .offset:         110
        .size:           2
        .value_kind:     hidden_remainder_z
      - .offset:         128
        .size:           8
        .value_kind:     hidden_global_offset_x
      - .offset:         136
        .size:           8
        .value_kind:     hidden_global_offset_y
      - .offset:         144
        .size:           8
        .value_kind:     hidden_global_offset_z
      - .offset:         152
        .size:           2
        .value_kind:     hidden_grid_dims
      - .offset:         168
        .size:           8
        .value_kind:     hidden_hostcall_buffer
    .group_segment_fixed_size: 0
    .kernarg_segment_align: 8
    .kernarg_segment_size: 344
    .language:       OpenCL C
    .language_version:
      - 2
      - 0
    .max_flat_workgroup_size: 1024
    .name:           Transform_H_S_001_16_16_VW_4
    .private_segment_fixed_size: 64
    .sgpr_count:     40
    .sgpr_spill_count: 0
    .symbol:         Transform_H_S_001_16_16_VW_4.kd
    .uniform_work_group_size: 1
    .uses_dynamic_stack: false
    .vgpr_count:     42
    .vgpr_spill_count: 0
    .wavefront_size: 64
  - .args:
      - .address_space:  global
        .offset:         0
        .size:           8
        .value_kind:     global_buffer
      - .address_space:  global
        .offset:         8
        .size:           8
        .value_kind:     global_buffer
      - .address_space:  global
        .offset:         16
        .size:           8
        .value_kind:     global_buffer
      - .offset:         24
        .size:           4
        .value_kind:     by_value
      - .address_space:  global
        .offset:         32
        .size:           8
        .value_kind:     global_buffer
      - .offset:         40
        .size:           4
        .value_kind:     by_value
      - .address_space:  global
        .offset:         48
        .size:           8
        .value_kind:     global_buffer
      - .offset:         56
        .size:           4
        .value_kind:     by_value
      - .offset:         60
        .size:           4
        .value_kind:     by_value
      - .offset:         64
        .size:           4
        .value_kind:     by_value
      - .offset:         68
        .size:           4
        .value_kind:     by_value
      - .offset:         72
        .size:           4
        .value_kind:     by_value
      - .offset:         76
        .size:           4
        .value_kind:     by_value
      - .offset:         80
        .size:           1
        .value_kind:     by_value
      - .offset:         81
        .size:           1
        .value_kind:     by_value
      - .offset:         88
        .size:           4
        .value_kind:     hidden_block_count_x
      - .offset:         92
        .size:           4
        .value_kind:     hidden_block_count_y
      - .offset:         96
        .size:           4
        .value_kind:     hidden_block_count_z
      - .offset:         100
        .size:           2
        .value_kind:     hidden_group_size_x
      - .offset:         102
        .size:           2
        .value_kind:     hidden_group_size_y
      - .offset:         104
        .size:           2
        .value_kind:     hidden_group_size_z
      - .offset:         106
        .size:           2
        .value_kind:     hidden_remainder_x
      - .offset:         108
        .size:           2
        .value_kind:     hidden_remainder_y
      - .offset:         110
        .size:           2
        .value_kind:     hidden_remainder_z
      - .offset:         128
        .size:           8
        .value_kind:     hidden_global_offset_x
      - .offset:         136
        .size:           8
        .value_kind:     hidden_global_offset_y
      - .offset:         144
        .size:           8
        .value_kind:     hidden_global_offset_z
      - .offset:         152
        .size:           2
        .value_kind:     hidden_grid_dims
      - .offset:         168
        .size:           8
        .value_kind:     hidden_hostcall_buffer
    .group_segment_fixed_size: 0
    .kernarg_segment_align: 8
    .kernarg_segment_size: 344
    .language:       OpenCL C
    .language_version:
      - 2
      - 0
    .max_flat_workgroup_size: 1024
    .name:           Transform_H_S_000_16_16_VW_1
    .private_segment_fixed_size: 64
    .sgpr_count:     40
    .sgpr_spill_count: 0
    .symbol:         Transform_H_S_000_16_16_VW_1.kd
    .uniform_work_group_size: 1
    .uses_dynamic_stack: false
    .vgpr_count:     42
    .vgpr_spill_count: 0
    .wavefront_size: 64
  - .args:
      - .address_space:  global
        .offset:         0
        .size:           8
        .value_kind:     global_buffer
      - .address_space:  global
        .offset:         8
        .size:           8
        .value_kind:     global_buffer
      - .address_space:  global
        .offset:         16
        .size:           8
        .value_kind:     global_buffer
      - .offset:         24
        .size:           4
        .value_kind:     by_value
      - .address_space:  global
        .offset:         32
        .size:           8
        .value_kind:     global_buffer
      - .offset:         40
        .size:           4
        .value_kind:     by_value
      - .address_space:  global
        .offset:         48
        .size:           8
        .value_kind:     global_buffer
      - .offset:         56
        .size:           4
        .value_kind:     by_value
      - .offset:         60
        .size:           4
        .value_kind:     by_value
      - .offset:         64
        .size:           4
        .value_kind:     by_value
      - .offset:         68
        .size:           4
        .value_kind:     by_value
      - .offset:         72
        .size:           4
        .value_kind:     by_value
      - .offset:         76
        .size:           4
        .value_kind:     by_value
      - .offset:         80
        .size:           1
        .value_kind:     by_value
      - .offset:         81
        .size:           1
        .value_kind:     by_value
      - .offset:         88
        .size:           4
        .value_kind:     hidden_block_count_x
      - .offset:         92
        .size:           4
        .value_kind:     hidden_block_count_y
      - .offset:         96
        .size:           4
        .value_kind:     hidden_block_count_z
      - .offset:         100
        .size:           2
        .value_kind:     hidden_group_size_x
      - .offset:         102
        .size:           2
        .value_kind:     hidden_group_size_y
      - .offset:         104
        .size:           2
        .value_kind:     hidden_group_size_z
      - .offset:         106
        .size:           2
        .value_kind:     hidden_remainder_x
      - .offset:         108
        .size:           2
        .value_kind:     hidden_remainder_y
      - .offset:         110
        .size:           2
        .value_kind:     hidden_remainder_z
      - .offset:         128
        .size:           8
        .value_kind:     hidden_global_offset_x
      - .offset:         136
        .size:           8
        .value_kind:     hidden_global_offset_y
      - .offset:         144
        .size:           8
        .value_kind:     hidden_global_offset_z
      - .offset:         152
        .size:           2
        .value_kind:     hidden_grid_dims
      - .offset:         168
        .size:           8
        .value_kind:     hidden_hostcall_buffer
    .group_segment_fixed_size: 0
    .kernarg_segment_align: 8
    .kernarg_segment_size: 344
    .language:       OpenCL C
    .language_version:
      - 2
      - 0
    .max_flat_workgroup_size: 1024
    .name:           Transform_H_S_000_16_16_VW_4
    .private_segment_fixed_size: 64
    .sgpr_count:     40
    .sgpr_spill_count: 0
    .symbol:         Transform_H_S_000_16_16_VW_4.kd
    .uniform_work_group_size: 1
    .uses_dynamic_stack: false
    .vgpr_count:     42
    .vgpr_spill_count: 0
    .wavefront_size: 64
  - .args:
      - .address_space:  global
        .offset:         0
        .size:           8
        .value_kind:     global_buffer
      - .address_space:  global
        .offset:         8
        .size:           8
        .value_kind:     global_buffer
      - .address_space:  global
        .offset:         16
        .size:           8
        .value_kind:     global_buffer
      - .offset:         24
        .size:           4
        .value_kind:     by_value
      - .address_space:  global
        .offset:         32
        .size:           8
        .value_kind:     global_buffer
      - .offset:         40
        .size:           4
        .value_kind:     by_value
      - .address_space:  global
        .offset:         48
        .size:           8
        .value_kind:     global_buffer
      - .offset:         56
        .size:           4
        .value_kind:     by_value
      - .offset:         60
        .size:           4
        .value_kind:     by_value
      - .offset:         64
        .size:           4
        .value_kind:     by_value
      - .offset:         68
        .size:           4
        .value_kind:     by_value
      - .offset:         72
        .size:           4
        .value_kind:     by_value
      - .offset:         76
        .size:           4
        .value_kind:     by_value
      - .offset:         80
        .size:           1
        .value_kind:     by_value
      - .offset:         81
        .size:           1
        .value_kind:     by_value
      - .offset:         88
        .size:           4
        .value_kind:     hidden_block_count_x
      - .offset:         92
        .size:           4
        .value_kind:     hidden_block_count_y
      - .offset:         96
        .size:           4
        .value_kind:     hidden_block_count_z
      - .offset:         100
        .size:           2
        .value_kind:     hidden_group_size_x
      - .offset:         102
        .size:           2
        .value_kind:     hidden_group_size_y
      - .offset:         104
        .size:           2
        .value_kind:     hidden_group_size_z
      - .offset:         106
        .size:           2
        .value_kind:     hidden_remainder_x
      - .offset:         108
        .size:           2
        .value_kind:     hidden_remainder_y
      - .offset:         110
        .size:           2
        .value_kind:     hidden_remainder_z
      - .offset:         128
        .size:           8
        .value_kind:     hidden_global_offset_x
      - .offset:         136
        .size:           8
        .value_kind:     hidden_global_offset_y
      - .offset:         144
        .size:           8
        .value_kind:     hidden_global_offset_z
      - .offset:         152
        .size:           2
        .value_kind:     hidden_grid_dims
      - .offset:         168
        .size:           8
        .value_kind:     hidden_hostcall_buffer
    .group_segment_fixed_size: 0
    .kernarg_segment_align: 8
    .kernarg_segment_size: 344
    .language:       OpenCL C
    .language_version:
      - 2
      - 0
    .max_flat_workgroup_size: 1024
    .name:           Transform_BF16_S_111_16_16_VW_1
    .private_segment_fixed_size: 64
    .sgpr_count:     40
    .sgpr_spill_count: 0
    .symbol:         Transform_BF16_S_111_16_16_VW_1.kd
    .uniform_work_group_size: 1
    .uses_dynamic_stack: false
    .vgpr_count:     42
    .vgpr_spill_count: 0
    .wavefront_size: 64
  - .args:
      - .address_space:  global
        .offset:         0
        .size:           8
        .value_kind:     global_buffer
      - .address_space:  global
        .offset:         8
        .size:           8
        .value_kind:     global_buffer
      - .address_space:  global
        .offset:         16
        .size:           8
        .value_kind:     global_buffer
      - .offset:         24
        .size:           4
        .value_kind:     by_value
      - .address_space:  global
        .offset:         32
        .size:           8
        .value_kind:     global_buffer
      - .offset:         40
        .size:           4
        .value_kind:     by_value
      - .address_space:  global
        .offset:         48
        .size:           8
        .value_kind:     global_buffer
      - .offset:         56
        .size:           4
        .value_kind:     by_value
      - .offset:         60
        .size:           4
        .value_kind:     by_value
      - .offset:         64
        .size:           4
        .value_kind:     by_value
      - .offset:         68
        .size:           4
        .value_kind:     by_value
      - .offset:         72
        .size:           4
        .value_kind:     by_value
      - .offset:         76
        .size:           4
        .value_kind:     by_value
      - .offset:         80
        .size:           1
        .value_kind:     by_value
      - .offset:         81
        .size:           1
        .value_kind:     by_value
      - .offset:         88
        .size:           4
        .value_kind:     hidden_block_count_x
      - .offset:         92
        .size:           4
        .value_kind:     hidden_block_count_y
      - .offset:         96
        .size:           4
        .value_kind:     hidden_block_count_z
      - .offset:         100
        .size:           2
        .value_kind:     hidden_group_size_x
      - .offset:         102
        .size:           2
        .value_kind:     hidden_group_size_y
      - .offset:         104
        .size:           2
        .value_kind:     hidden_group_size_z
      - .offset:         106
        .size:           2
        .value_kind:     hidden_remainder_x
      - .offset:         108
        .size:           2
        .value_kind:     hidden_remainder_y
      - .offset:         110
        .size:           2
        .value_kind:     hidden_remainder_z
      - .offset:         128
        .size:           8
        .value_kind:     hidden_global_offset_x
      - .offset:         136
        .size:           8
        .value_kind:     hidden_global_offset_y
      - .offset:         144
        .size:           8
        .value_kind:     hidden_global_offset_z
      - .offset:         152
        .size:           2
        .value_kind:     hidden_grid_dims
      - .offset:         168
        .size:           8
        .value_kind:     hidden_hostcall_buffer
    .group_segment_fixed_size: 8192
    .kernarg_segment_align: 8
    .kernarg_segment_size: 344
    .language:       OpenCL C
    .language_version:
      - 2
      - 0
    .max_flat_workgroup_size: 1024
    .name:           Transform_BF16_S_111_16_16_VW_4
    .private_segment_fixed_size: 64
    .sgpr_count:     42
    .sgpr_spill_count: 0
    .symbol:         Transform_BF16_S_111_16_16_VW_4.kd
    .uniform_work_group_size: 1
    .uses_dynamic_stack: false
    .vgpr_count:     44
    .vgpr_spill_count: 0
    .wavefront_size: 64
  - .args:
      - .address_space:  global
        .offset:         0
        .size:           8
        .value_kind:     global_buffer
      - .address_space:  global
        .offset:         8
        .size:           8
        .value_kind:     global_buffer
      - .address_space:  global
        .offset:         16
        .size:           8
        .value_kind:     global_buffer
      - .offset:         24
        .size:           4
        .value_kind:     by_value
      - .address_space:  global
        .offset:         32
        .size:           8
        .value_kind:     global_buffer
      - .offset:         40
        .size:           4
        .value_kind:     by_value
      - .address_space:  global
        .offset:         48
        .size:           8
        .value_kind:     global_buffer
      - .offset:         56
        .size:           4
        .value_kind:     by_value
      - .offset:         60
        .size:           4
        .value_kind:     by_value
      - .offset:         64
        .size:           4
        .value_kind:     by_value
      - .offset:         68
        .size:           4
        .value_kind:     by_value
      - .offset:         72
        .size:           4
        .value_kind:     by_value
      - .offset:         76
        .size:           4
        .value_kind:     by_value
      - .offset:         80
        .size:           1
        .value_kind:     by_value
      - .offset:         81
        .size:           1
        .value_kind:     by_value
      - .offset:         88
        .size:           4
        .value_kind:     hidden_block_count_x
      - .offset:         92
        .size:           4
        .value_kind:     hidden_block_count_y
      - .offset:         96
        .size:           4
        .value_kind:     hidden_block_count_z
      - .offset:         100
        .size:           2
        .value_kind:     hidden_group_size_x
      - .offset:         102
        .size:           2
        .value_kind:     hidden_group_size_y
      - .offset:         104
        .size:           2
        .value_kind:     hidden_group_size_z
      - .offset:         106
        .size:           2
        .value_kind:     hidden_remainder_x
      - .offset:         108
        .size:           2
        .value_kind:     hidden_remainder_y
      - .offset:         110
        .size:           2
        .value_kind:     hidden_remainder_z
      - .offset:         128
        .size:           8
        .value_kind:     hidden_global_offset_x
      - .offset:         136
        .size:           8
        .value_kind:     hidden_global_offset_y
      - .offset:         144
        .size:           8
        .value_kind:     hidden_global_offset_z
      - .offset:         152
        .size:           2
        .value_kind:     hidden_grid_dims
      - .offset:         168
        .size:           8
        .value_kind:     hidden_hostcall_buffer
    .group_segment_fixed_size: 0
    .kernarg_segment_align: 8
    .kernarg_segment_size: 344
    .language:       OpenCL C
    .language_version:
      - 2
      - 0
    .max_flat_workgroup_size: 1024
    .name:           Transform_BF16_S_110_16_16_VW_1
    .private_segment_fixed_size: 64
    .sgpr_count:     40
    .sgpr_spill_count: 0
    .symbol:         Transform_BF16_S_110_16_16_VW_1.kd
    .uniform_work_group_size: 1
    .uses_dynamic_stack: false
    .vgpr_count:     42
    .vgpr_spill_count: 0
    .wavefront_size: 64
  - .args:
      - .address_space:  global
        .offset:         0
        .size:           8
        .value_kind:     global_buffer
      - .address_space:  global
        .offset:         8
        .size:           8
        .value_kind:     global_buffer
      - .address_space:  global
        .offset:         16
        .size:           8
        .value_kind:     global_buffer
      - .offset:         24
        .size:           4
        .value_kind:     by_value
      - .address_space:  global
        .offset:         32
        .size:           8
        .value_kind:     global_buffer
      - .offset:         40
        .size:           4
        .value_kind:     by_value
      - .address_space:  global
        .offset:         48
        .size:           8
        .value_kind:     global_buffer
      - .offset:         56
        .size:           4
        .value_kind:     by_value
      - .offset:         60
        .size:           4
        .value_kind:     by_value
      - .offset:         64
        .size:           4
        .value_kind:     by_value
      - .offset:         68
        .size:           4
        .value_kind:     by_value
      - .offset:         72
        .size:           4
        .value_kind:     by_value
      - .offset:         76
        .size:           4
        .value_kind:     by_value
      - .offset:         80
        .size:           1
        .value_kind:     by_value
      - .offset:         81
        .size:           1
        .value_kind:     by_value
      - .offset:         88
        .size:           4
        .value_kind:     hidden_block_count_x
      - .offset:         92
        .size:           4
        .value_kind:     hidden_block_count_y
      - .offset:         96
        .size:           4
        .value_kind:     hidden_block_count_z
      - .offset:         100
        .size:           2
        .value_kind:     hidden_group_size_x
      - .offset:         102
        .size:           2
        .value_kind:     hidden_group_size_y
      - .offset:         104
        .size:           2
        .value_kind:     hidden_group_size_z
      - .offset:         106
        .size:           2
        .value_kind:     hidden_remainder_x
      - .offset:         108
        .size:           2
        .value_kind:     hidden_remainder_y
      - .offset:         110
        .size:           2
        .value_kind:     hidden_remainder_z
      - .offset:         128
        .size:           8
        .value_kind:     hidden_global_offset_x
      - .offset:         136
        .size:           8
        .value_kind:     hidden_global_offset_y
      - .offset:         144
        .size:           8
        .value_kind:     hidden_global_offset_z
      - .offset:         152
        .size:           2
        .value_kind:     hidden_grid_dims
      - .offset:         168
        .size:           8
        .value_kind:     hidden_hostcall_buffer
    .group_segment_fixed_size: 8192
    .kernarg_segment_align: 8
    .kernarg_segment_size: 344
    .language:       OpenCL C
    .language_version:
      - 2
      - 0
    .max_flat_workgroup_size: 1024
    .name:           Transform_BF16_S_110_16_16_VW_4
    .private_segment_fixed_size: 64
    .sgpr_count:     42
    .sgpr_spill_count: 0
    .symbol:         Transform_BF16_S_110_16_16_VW_4.kd
    .uniform_work_group_size: 1
    .uses_dynamic_stack: false
    .vgpr_count:     44
    .vgpr_spill_count: 0
    .wavefront_size: 64
  - .args:
      - .address_space:  global
        .offset:         0
        .size:           8
        .value_kind:     global_buffer
      - .address_space:  global
        .offset:         8
        .size:           8
        .value_kind:     global_buffer
      - .address_space:  global
        .offset:         16
        .size:           8
        .value_kind:     global_buffer
      - .offset:         24
        .size:           4
        .value_kind:     by_value
      - .address_space:  global
        .offset:         32
        .size:           8
        .value_kind:     global_buffer
      - .offset:         40
        .size:           4
        .value_kind:     by_value
      - .address_space:  global
        .offset:         48
        .size:           8
        .value_kind:     global_buffer
      - .offset:         56
        .size:           4
        .value_kind:     by_value
      - .offset:         60
        .size:           4
        .value_kind:     by_value
      - .offset:         64
        .size:           4
        .value_kind:     by_value
      - .offset:         68
        .size:           4
        .value_kind:     by_value
      - .offset:         72
        .size:           4
        .value_kind:     by_value
      - .offset:         76
        .size:           4
        .value_kind:     by_value
      - .offset:         80
        .size:           1
        .value_kind:     by_value
      - .offset:         81
        .size:           1
        .value_kind:     by_value
      - .offset:         88
        .size:           4
        .value_kind:     hidden_block_count_x
      - .offset:         92
        .size:           4
        .value_kind:     hidden_block_count_y
      - .offset:         96
        .size:           4
        .value_kind:     hidden_block_count_z
      - .offset:         100
        .size:           2
        .value_kind:     hidden_group_size_x
      - .offset:         102
        .size:           2
        .value_kind:     hidden_group_size_y
      - .offset:         104
        .size:           2
        .value_kind:     hidden_group_size_z
      - .offset:         106
        .size:           2
        .value_kind:     hidden_remainder_x
      - .offset:         108
        .size:           2
        .value_kind:     hidden_remainder_y
      - .offset:         110
        .size:           2
        .value_kind:     hidden_remainder_z
      - .offset:         128
        .size:           8
        .value_kind:     hidden_global_offset_x
      - .offset:         136
        .size:           8
        .value_kind:     hidden_global_offset_y
      - .offset:         144
        .size:           8
        .value_kind:     hidden_global_offset_z
      - .offset:         152
        .size:           2
        .value_kind:     hidden_grid_dims
      - .offset:         168
        .size:           8
        .value_kind:     hidden_hostcall_buffer
    .group_segment_fixed_size: 0
    .kernarg_segment_align: 8
    .kernarg_segment_size: 344
    .language:       OpenCL C
    .language_version:
      - 2
      - 0
    .max_flat_workgroup_size: 1024
    .name:           Transform_BF16_S_101_16_16_VW_1
    .private_segment_fixed_size: 64
    .sgpr_count:     40
    .sgpr_spill_count: 0
    .symbol:         Transform_BF16_S_101_16_16_VW_1.kd
    .uniform_work_group_size: 1
    .uses_dynamic_stack: false
    .vgpr_count:     42
    .vgpr_spill_count: 0
    .wavefront_size: 64
  - .args:
      - .address_space:  global
        .offset:         0
        .size:           8
        .value_kind:     global_buffer
      - .address_space:  global
        .offset:         8
        .size:           8
        .value_kind:     global_buffer
      - .address_space:  global
        .offset:         16
        .size:           8
        .value_kind:     global_buffer
      - .offset:         24
        .size:           4
        .value_kind:     by_value
      - .address_space:  global
        .offset:         32
        .size:           8
        .value_kind:     global_buffer
      - .offset:         40
        .size:           4
        .value_kind:     by_value
      - .address_space:  global
        .offset:         48
        .size:           8
        .value_kind:     global_buffer
      - .offset:         56
        .size:           4
        .value_kind:     by_value
      - .offset:         60
        .size:           4
        .value_kind:     by_value
      - .offset:         64
        .size:           4
        .value_kind:     by_value
      - .offset:         68
        .size:           4
        .value_kind:     by_value
      - .offset:         72
        .size:           4
        .value_kind:     by_value
      - .offset:         76
        .size:           4
        .value_kind:     by_value
      - .offset:         80
        .size:           1
        .value_kind:     by_value
      - .offset:         81
        .size:           1
        .value_kind:     by_value
      - .offset:         88
        .size:           4
        .value_kind:     hidden_block_count_x
      - .offset:         92
        .size:           4
        .value_kind:     hidden_block_count_y
      - .offset:         96
        .size:           4
        .value_kind:     hidden_block_count_z
      - .offset:         100
        .size:           2
        .value_kind:     hidden_group_size_x
      - .offset:         102
        .size:           2
        .value_kind:     hidden_group_size_y
      - .offset:         104
        .size:           2
        .value_kind:     hidden_group_size_z
      - .offset:         106
        .size:           2
        .value_kind:     hidden_remainder_x
      - .offset:         108
        .size:           2
        .value_kind:     hidden_remainder_y
      - .offset:         110
        .size:           2
        .value_kind:     hidden_remainder_z
      - .offset:         128
        .size:           8
        .value_kind:     hidden_global_offset_x
      - .offset:         136
        .size:           8
        .value_kind:     hidden_global_offset_y
      - .offset:         144
        .size:           8
        .value_kind:     hidden_global_offset_z
      - .offset:         152
        .size:           2
        .value_kind:     hidden_grid_dims
      - .offset:         168
        .size:           8
        .value_kind:     hidden_hostcall_buffer
    .group_segment_fixed_size: 8192
    .kernarg_segment_align: 8
    .kernarg_segment_size: 344
    .language:       OpenCL C
    .language_version:
      - 2
      - 0
    .max_flat_workgroup_size: 1024
    .name:           Transform_BF16_S_101_16_16_VW_4
    .private_segment_fixed_size: 64
    .sgpr_count:     42
    .sgpr_spill_count: 0
    .symbol:         Transform_BF16_S_101_16_16_VW_4.kd
    .uniform_work_group_size: 1
    .uses_dynamic_stack: false
    .vgpr_count:     44
    .vgpr_spill_count: 0
    .wavefront_size: 64
  - .args:
      - .address_space:  global
        .offset:         0
        .size:           8
        .value_kind:     global_buffer
      - .address_space:  global
        .offset:         8
        .size:           8
        .value_kind:     global_buffer
      - .address_space:  global
        .offset:         16
        .size:           8
        .value_kind:     global_buffer
      - .offset:         24
        .size:           4
        .value_kind:     by_value
      - .address_space:  global
        .offset:         32
        .size:           8
        .value_kind:     global_buffer
      - .offset:         40
        .size:           4
        .value_kind:     by_value
      - .address_space:  global
        .offset:         48
        .size:           8
        .value_kind:     global_buffer
      - .offset:         56
        .size:           4
        .value_kind:     by_value
      - .offset:         60
        .size:           4
        .value_kind:     by_value
      - .offset:         64
        .size:           4
        .value_kind:     by_value
      - .offset:         68
        .size:           4
        .value_kind:     by_value
      - .offset:         72
        .size:           4
        .value_kind:     by_value
      - .offset:         76
        .size:           4
        .value_kind:     by_value
      - .offset:         80
        .size:           1
        .value_kind:     by_value
      - .offset:         81
        .size:           1
        .value_kind:     by_value
      - .offset:         88
        .size:           4
        .value_kind:     hidden_block_count_x
      - .offset:         92
        .size:           4
        .value_kind:     hidden_block_count_y
      - .offset:         96
        .size:           4
        .value_kind:     hidden_block_count_z
      - .offset:         100
        .size:           2
        .value_kind:     hidden_group_size_x
      - .offset:         102
        .size:           2
        .value_kind:     hidden_group_size_y
      - .offset:         104
        .size:           2
        .value_kind:     hidden_group_size_z
      - .offset:         106
        .size:           2
        .value_kind:     hidden_remainder_x
      - .offset:         108
        .size:           2
        .value_kind:     hidden_remainder_y
      - .offset:         110
        .size:           2
        .value_kind:     hidden_remainder_z
      - .offset:         128
        .size:           8
        .value_kind:     hidden_global_offset_x
      - .offset:         136
        .size:           8
        .value_kind:     hidden_global_offset_y
      - .offset:         144
        .size:           8
        .value_kind:     hidden_global_offset_z
      - .offset:         152
        .size:           2
        .value_kind:     hidden_grid_dims
      - .offset:         168
        .size:           8
        .value_kind:     hidden_hostcall_buffer
    .group_segment_fixed_size: 0
    .kernarg_segment_align: 8
    .kernarg_segment_size: 344
    .language:       OpenCL C
    .language_version:
      - 2
      - 0
    .max_flat_workgroup_size: 1024
    .name:           Transform_BF16_S_100_16_16_VW_1
    .private_segment_fixed_size: 64
    .sgpr_count:     40
    .sgpr_spill_count: 0
    .symbol:         Transform_BF16_S_100_16_16_VW_1.kd
    .uniform_work_group_size: 1
    .uses_dynamic_stack: false
    .vgpr_count:     42
    .vgpr_spill_count: 0
    .wavefront_size: 64
  - .args:
      - .address_space:  global
        .offset:         0
        .size:           8
        .value_kind:     global_buffer
      - .address_space:  global
        .offset:         8
        .size:           8
        .value_kind:     global_buffer
      - .address_space:  global
        .offset:         16
        .size:           8
        .value_kind:     global_buffer
      - .offset:         24
        .size:           4
        .value_kind:     by_value
      - .address_space:  global
        .offset:         32
        .size:           8
        .value_kind:     global_buffer
      - .offset:         40
        .size:           4
        .value_kind:     by_value
      - .address_space:  global
        .offset:         48
        .size:           8
        .value_kind:     global_buffer
      - .offset:         56
        .size:           4
        .value_kind:     by_value
      - .offset:         60
        .size:           4
        .value_kind:     by_value
      - .offset:         64
        .size:           4
        .value_kind:     by_value
      - .offset:         68
        .size:           4
        .value_kind:     by_value
      - .offset:         72
        .size:           4
        .value_kind:     by_value
      - .offset:         76
        .size:           4
        .value_kind:     by_value
      - .offset:         80
        .size:           1
        .value_kind:     by_value
      - .offset:         81
        .size:           1
        .value_kind:     by_value
      - .offset:         88
        .size:           4
        .value_kind:     hidden_block_count_x
      - .offset:         92
        .size:           4
        .value_kind:     hidden_block_count_y
      - .offset:         96
        .size:           4
        .value_kind:     hidden_block_count_z
      - .offset:         100
        .size:           2
        .value_kind:     hidden_group_size_x
      - .offset:         102
        .size:           2
        .value_kind:     hidden_group_size_y
      - .offset:         104
        .size:           2
        .value_kind:     hidden_group_size_z
      - .offset:         106
        .size:           2
        .value_kind:     hidden_remainder_x
      - .offset:         108
        .size:           2
        .value_kind:     hidden_remainder_y
      - .offset:         110
        .size:           2
        .value_kind:     hidden_remainder_z
      - .offset:         128
        .size:           8
        .value_kind:     hidden_global_offset_x
      - .offset:         136
        .size:           8
        .value_kind:     hidden_global_offset_y
      - .offset:         144
        .size:           8
        .value_kind:     hidden_global_offset_z
      - .offset:         152
        .size:           2
        .value_kind:     hidden_grid_dims
      - .offset:         168
        .size:           8
        .value_kind:     hidden_hostcall_buffer
    .group_segment_fixed_size: 8192
    .kernarg_segment_align: 8
    .kernarg_segment_size: 344
    .language:       OpenCL C
    .language_version:
      - 2
      - 0
    .max_flat_workgroup_size: 1024
    .name:           Transform_BF16_S_100_16_16_VW_4
    .private_segment_fixed_size: 64
    .sgpr_count:     42
    .sgpr_spill_count: 0
    .symbol:         Transform_BF16_S_100_16_16_VW_4.kd
    .uniform_work_group_size: 1
    .uses_dynamic_stack: false
    .vgpr_count:     44
    .vgpr_spill_count: 0
    .wavefront_size: 64
  - .args:
      - .address_space:  global
        .offset:         0
        .size:           8
        .value_kind:     global_buffer
      - .address_space:  global
        .offset:         8
        .size:           8
        .value_kind:     global_buffer
      - .address_space:  global
        .offset:         16
        .size:           8
        .value_kind:     global_buffer
      - .offset:         24
        .size:           4
        .value_kind:     by_value
      - .address_space:  global
        .offset:         32
        .size:           8
        .value_kind:     global_buffer
      - .offset:         40
        .size:           4
        .value_kind:     by_value
      - .address_space:  global
        .offset:         48
        .size:           8
        .value_kind:     global_buffer
      - .offset:         56
        .size:           4
        .value_kind:     by_value
      - .offset:         60
        .size:           4
        .value_kind:     by_value
      - .offset:         64
        .size:           4
        .value_kind:     by_value
      - .offset:         68
        .size:           4
        .value_kind:     by_value
      - .offset:         72
        .size:           4
        .value_kind:     by_value
      - .offset:         76
        .size:           4
        .value_kind:     by_value
      - .offset:         80
        .size:           1
        .value_kind:     by_value
      - .offset:         81
        .size:           1
        .value_kind:     by_value
      - .offset:         88
        .size:           4
        .value_kind:     hidden_block_count_x
      - .offset:         92
        .size:           4
        .value_kind:     hidden_block_count_y
      - .offset:         96
        .size:           4
        .value_kind:     hidden_block_count_z
      - .offset:         100
        .size:           2
        .value_kind:     hidden_group_size_x
      - .offset:         102
        .size:           2
        .value_kind:     hidden_group_size_y
      - .offset:         104
        .size:           2
        .value_kind:     hidden_group_size_z
      - .offset:         106
        .size:           2
        .value_kind:     hidden_remainder_x
      - .offset:         108
        .size:           2
        .value_kind:     hidden_remainder_y
      - .offset:         110
        .size:           2
        .value_kind:     hidden_remainder_z
      - .offset:         128
        .size:           8
        .value_kind:     hidden_global_offset_x
      - .offset:         136
        .size:           8
        .value_kind:     hidden_global_offset_y
      - .offset:         144
        .size:           8
        .value_kind:     hidden_global_offset_z
      - .offset:         152
        .size:           2
        .value_kind:     hidden_grid_dims
      - .offset:         168
        .size:           8
        .value_kind:     hidden_hostcall_buffer
    .group_segment_fixed_size: 0
    .kernarg_segment_align: 8
    .kernarg_segment_size: 344
    .language:       OpenCL C
    .language_version:
      - 2
      - 0
    .max_flat_workgroup_size: 1024
    .name:           Transform_BF16_S_011_16_16_VW_1
    .private_segment_fixed_size: 64
    .sgpr_count:     40
    .sgpr_spill_count: 0
    .symbol:         Transform_BF16_S_011_16_16_VW_1.kd
    .uniform_work_group_size: 1
    .uses_dynamic_stack: false
    .vgpr_count:     42
    .vgpr_spill_count: 0
    .wavefront_size: 64
  - .args:
      - .address_space:  global
        .offset:         0
        .size:           8
        .value_kind:     global_buffer
      - .address_space:  global
        .offset:         8
        .size:           8
        .value_kind:     global_buffer
      - .address_space:  global
        .offset:         16
        .size:           8
        .value_kind:     global_buffer
      - .offset:         24
        .size:           4
        .value_kind:     by_value
      - .address_space:  global
        .offset:         32
        .size:           8
        .value_kind:     global_buffer
      - .offset:         40
        .size:           4
        .value_kind:     by_value
      - .address_space:  global
        .offset:         48
        .size:           8
        .value_kind:     global_buffer
      - .offset:         56
        .size:           4
        .value_kind:     by_value
      - .offset:         60
        .size:           4
        .value_kind:     by_value
      - .offset:         64
        .size:           4
        .value_kind:     by_value
      - .offset:         68
        .size:           4
        .value_kind:     by_value
      - .offset:         72
        .size:           4
        .value_kind:     by_value
      - .offset:         76
        .size:           4
        .value_kind:     by_value
      - .offset:         80
        .size:           1
        .value_kind:     by_value
      - .offset:         81
        .size:           1
        .value_kind:     by_value
      - .offset:         88
        .size:           4
        .value_kind:     hidden_block_count_x
      - .offset:         92
        .size:           4
        .value_kind:     hidden_block_count_y
      - .offset:         96
        .size:           4
        .value_kind:     hidden_block_count_z
      - .offset:         100
        .size:           2
        .value_kind:     hidden_group_size_x
      - .offset:         102
        .size:           2
        .value_kind:     hidden_group_size_y
      - .offset:         104
        .size:           2
        .value_kind:     hidden_group_size_z
      - .offset:         106
        .size:           2
        .value_kind:     hidden_remainder_x
      - .offset:         108
        .size:           2
        .value_kind:     hidden_remainder_y
      - .offset:         110
        .size:           2
        .value_kind:     hidden_remainder_z
      - .offset:         128
        .size:           8
        .value_kind:     hidden_global_offset_x
      - .offset:         136
        .size:           8
        .value_kind:     hidden_global_offset_y
      - .offset:         144
        .size:           8
        .value_kind:     hidden_global_offset_z
      - .offset:         152
        .size:           2
        .value_kind:     hidden_grid_dims
      - .offset:         168
        .size:           8
        .value_kind:     hidden_hostcall_buffer
    .group_segment_fixed_size: 8192
    .kernarg_segment_align: 8
    .kernarg_segment_size: 344
    .language:       OpenCL C
    .language_version:
      - 2
      - 0
    .max_flat_workgroup_size: 1024
    .name:           Transform_BF16_S_011_16_16_VW_4
    .private_segment_fixed_size: 64
    .sgpr_count:     42
    .sgpr_spill_count: 0
    .symbol:         Transform_BF16_S_011_16_16_VW_4.kd
    .uniform_work_group_size: 1
    .uses_dynamic_stack: false
    .vgpr_count:     44
    .vgpr_spill_count: 0
    .wavefront_size: 64
  - .args:
      - .address_space:  global
        .offset:         0
        .size:           8
        .value_kind:     global_buffer
      - .address_space:  global
        .offset:         8
        .size:           8
        .value_kind:     global_buffer
      - .address_space:  global
        .offset:         16
        .size:           8
        .value_kind:     global_buffer
      - .offset:         24
        .size:           4
        .value_kind:     by_value
      - .address_space:  global
        .offset:         32
        .size:           8
        .value_kind:     global_buffer
      - .offset:         40
        .size:           4
        .value_kind:     by_value
      - .address_space:  global
        .offset:         48
        .size:           8
        .value_kind:     global_buffer
      - .offset:         56
        .size:           4
        .value_kind:     by_value
      - .offset:         60
        .size:           4
        .value_kind:     by_value
      - .offset:         64
        .size:           4
        .value_kind:     by_value
      - .offset:         68
        .size:           4
        .value_kind:     by_value
      - .offset:         72
        .size:           4
        .value_kind:     by_value
      - .offset:         76
        .size:           4
        .value_kind:     by_value
      - .offset:         80
        .size:           1
        .value_kind:     by_value
      - .offset:         81
        .size:           1
        .value_kind:     by_value
      - .offset:         88
        .size:           4
        .value_kind:     hidden_block_count_x
      - .offset:         92
        .size:           4
        .value_kind:     hidden_block_count_y
      - .offset:         96
        .size:           4
        .value_kind:     hidden_block_count_z
      - .offset:         100
        .size:           2
        .value_kind:     hidden_group_size_x
      - .offset:         102
        .size:           2
        .value_kind:     hidden_group_size_y
      - .offset:         104
        .size:           2
        .value_kind:     hidden_group_size_z
      - .offset:         106
        .size:           2
        .value_kind:     hidden_remainder_x
      - .offset:         108
        .size:           2
        .value_kind:     hidden_remainder_y
      - .offset:         110
        .size:           2
        .value_kind:     hidden_remainder_z
      - .offset:         128
        .size:           8
        .value_kind:     hidden_global_offset_x
      - .offset:         136
        .size:           8
        .value_kind:     hidden_global_offset_y
      - .offset:         144
        .size:           8
        .value_kind:     hidden_global_offset_z
      - .offset:         152
        .size:           2
        .value_kind:     hidden_grid_dims
      - .offset:         168
        .size:           8
        .value_kind:     hidden_hostcall_buffer
    .group_segment_fixed_size: 0
    .kernarg_segment_align: 8
    .kernarg_segment_size: 344
    .language:       OpenCL C
    .language_version:
      - 2
      - 0
    .max_flat_workgroup_size: 1024
    .name:           Transform_BF16_S_010_16_16_VW_1
    .private_segment_fixed_size: 64
    .sgpr_count:     40
    .sgpr_spill_count: 0
    .symbol:         Transform_BF16_S_010_16_16_VW_1.kd
    .uniform_work_group_size: 1
    .uses_dynamic_stack: false
    .vgpr_count:     42
    .vgpr_spill_count: 0
    .wavefront_size: 64
  - .args:
      - .address_space:  global
        .offset:         0
        .size:           8
        .value_kind:     global_buffer
      - .address_space:  global
        .offset:         8
        .size:           8
        .value_kind:     global_buffer
      - .address_space:  global
        .offset:         16
        .size:           8
        .value_kind:     global_buffer
      - .offset:         24
        .size:           4
        .value_kind:     by_value
      - .address_space:  global
        .offset:         32
        .size:           8
        .value_kind:     global_buffer
      - .offset:         40
        .size:           4
        .value_kind:     by_value
      - .address_space:  global
        .offset:         48
        .size:           8
        .value_kind:     global_buffer
      - .offset:         56
        .size:           4
        .value_kind:     by_value
      - .offset:         60
        .size:           4
        .value_kind:     by_value
      - .offset:         64
        .size:           4
        .value_kind:     by_value
      - .offset:         68
        .size:           4
        .value_kind:     by_value
      - .offset:         72
        .size:           4
        .value_kind:     by_value
      - .offset:         76
        .size:           4
        .value_kind:     by_value
      - .offset:         80
        .size:           1
        .value_kind:     by_value
      - .offset:         81
        .size:           1
        .value_kind:     by_value
      - .offset:         88
        .size:           4
        .value_kind:     hidden_block_count_x
      - .offset:         92
        .size:           4
        .value_kind:     hidden_block_count_y
      - .offset:         96
        .size:           4
        .value_kind:     hidden_block_count_z
      - .offset:         100
        .size:           2
        .value_kind:     hidden_group_size_x
      - .offset:         102
        .size:           2
        .value_kind:     hidden_group_size_y
      - .offset:         104
        .size:           2
        .value_kind:     hidden_group_size_z
      - .offset:         106
        .size:           2
        .value_kind:     hidden_remainder_x
      - .offset:         108
        .size:           2
        .value_kind:     hidden_remainder_y
      - .offset:         110
        .size:           2
        .value_kind:     hidden_remainder_z
      - .offset:         128
        .size:           8
        .value_kind:     hidden_global_offset_x
      - .offset:         136
        .size:           8
        .value_kind:     hidden_global_offset_y
      - .offset:         144
        .size:           8
        .value_kind:     hidden_global_offset_z
      - .offset:         152
        .size:           2
        .value_kind:     hidden_grid_dims
      - .offset:         168
        .size:           8
        .value_kind:     hidden_hostcall_buffer
    .group_segment_fixed_size: 8192
    .kernarg_segment_align: 8
    .kernarg_segment_size: 344
    .language:       OpenCL C
    .language_version:
      - 2
      - 0
    .max_flat_workgroup_size: 1024
    .name:           Transform_BF16_S_010_16_16_VW_4
    .private_segment_fixed_size: 64
    .sgpr_count:     42
    .sgpr_spill_count: 0
    .symbol:         Transform_BF16_S_010_16_16_VW_4.kd
    .uniform_work_group_size: 1
    .uses_dynamic_stack: false
    .vgpr_count:     44
    .vgpr_spill_count: 0
    .wavefront_size: 64
  - .args:
      - .address_space:  global
        .offset:         0
        .size:           8
        .value_kind:     global_buffer
      - .address_space:  global
        .offset:         8
        .size:           8
        .value_kind:     global_buffer
      - .address_space:  global
        .offset:         16
        .size:           8
        .value_kind:     global_buffer
      - .offset:         24
        .size:           4
        .value_kind:     by_value
      - .address_space:  global
        .offset:         32
        .size:           8
        .value_kind:     global_buffer
      - .offset:         40
        .size:           4
        .value_kind:     by_value
      - .address_space:  global
        .offset:         48
        .size:           8
        .value_kind:     global_buffer
      - .offset:         56
        .size:           4
        .value_kind:     by_value
      - .offset:         60
        .size:           4
        .value_kind:     by_value
      - .offset:         64
        .size:           4
        .value_kind:     by_value
      - .offset:         68
        .size:           4
        .value_kind:     by_value
      - .offset:         72
        .size:           4
        .value_kind:     by_value
      - .offset:         76
        .size:           4
        .value_kind:     by_value
      - .offset:         80
        .size:           1
        .value_kind:     by_value
      - .offset:         81
        .size:           1
        .value_kind:     by_value
      - .offset:         88
        .size:           4
        .value_kind:     hidden_block_count_x
      - .offset:         92
        .size:           4
        .value_kind:     hidden_block_count_y
      - .offset:         96
        .size:           4
        .value_kind:     hidden_block_count_z
      - .offset:         100
        .size:           2
        .value_kind:     hidden_group_size_x
      - .offset:         102
        .size:           2
        .value_kind:     hidden_group_size_y
      - .offset:         104
        .size:           2
        .value_kind:     hidden_group_size_z
      - .offset:         106
        .size:           2
        .value_kind:     hidden_remainder_x
      - .offset:         108
        .size:           2
        .value_kind:     hidden_remainder_y
      - .offset:         110
        .size:           2
        .value_kind:     hidden_remainder_z
      - .offset:         128
        .size:           8
        .value_kind:     hidden_global_offset_x
      - .offset:         136
        .size:           8
        .value_kind:     hidden_global_offset_y
      - .offset:         144
        .size:           8
        .value_kind:     hidden_global_offset_z
      - .offset:         152
        .size:           2
        .value_kind:     hidden_grid_dims
      - .offset:         168
        .size:           8
        .value_kind:     hidden_hostcall_buffer
    .group_segment_fixed_size: 0
    .kernarg_segment_align: 8
    .kernarg_segment_size: 344
    .language:       OpenCL C
    .language_version:
      - 2
      - 0
    .max_flat_workgroup_size: 1024
    .name:           Transform_BF16_S_001_16_16_VW_1
    .private_segment_fixed_size: 64
    .sgpr_count:     40
    .sgpr_spill_count: 0
    .symbol:         Transform_BF16_S_001_16_16_VW_1.kd
    .uniform_work_group_size: 1
    .uses_dynamic_stack: false
    .vgpr_count:     42
    .vgpr_spill_count: 0
    .wavefront_size: 64
  - .args:
      - .address_space:  global
        .offset:         0
        .size:           8
        .value_kind:     global_buffer
      - .address_space:  global
        .offset:         8
        .size:           8
        .value_kind:     global_buffer
      - .address_space:  global
        .offset:         16
        .size:           8
        .value_kind:     global_buffer
      - .offset:         24
        .size:           4
        .value_kind:     by_value
      - .address_space:  global
        .offset:         32
        .size:           8
        .value_kind:     global_buffer
      - .offset:         40
        .size:           4
        .value_kind:     by_value
      - .address_space:  global
        .offset:         48
        .size:           8
        .value_kind:     global_buffer
      - .offset:         56
        .size:           4
        .value_kind:     by_value
      - .offset:         60
        .size:           4
        .value_kind:     by_value
      - .offset:         64
        .size:           4
        .value_kind:     by_value
      - .offset:         68
        .size:           4
        .value_kind:     by_value
      - .offset:         72
        .size:           4
        .value_kind:     by_value
      - .offset:         76
        .size:           4
        .value_kind:     by_value
      - .offset:         80
        .size:           1
        .value_kind:     by_value
      - .offset:         81
        .size:           1
        .value_kind:     by_value
      - .offset:         88
        .size:           4
        .value_kind:     hidden_block_count_x
      - .offset:         92
        .size:           4
        .value_kind:     hidden_block_count_y
      - .offset:         96
        .size:           4
        .value_kind:     hidden_block_count_z
      - .offset:         100
        .size:           2
        .value_kind:     hidden_group_size_x
      - .offset:         102
        .size:           2
        .value_kind:     hidden_group_size_y
      - .offset:         104
        .size:           2
        .value_kind:     hidden_group_size_z
      - .offset:         106
        .size:           2
        .value_kind:     hidden_remainder_x
      - .offset:         108
        .size:           2
        .value_kind:     hidden_remainder_y
      - .offset:         110
        .size:           2
        .value_kind:     hidden_remainder_z
      - .offset:         128
        .size:           8
        .value_kind:     hidden_global_offset_x
      - .offset:         136
        .size:           8
        .value_kind:     hidden_global_offset_y
      - .offset:         144
        .size:           8
        .value_kind:     hidden_global_offset_z
      - .offset:         152
        .size:           2
        .value_kind:     hidden_grid_dims
      - .offset:         168
        .size:           8
        .value_kind:     hidden_hostcall_buffer
    .group_segment_fixed_size: 8192
    .kernarg_segment_align: 8
    .kernarg_segment_size: 344
    .language:       OpenCL C
    .language_version:
      - 2
      - 0
    .max_flat_workgroup_size: 1024
    .name:           Transform_BF16_S_001_16_16_VW_4
    .private_segment_fixed_size: 64
    .sgpr_count:     42
    .sgpr_spill_count: 0
    .symbol:         Transform_BF16_S_001_16_16_VW_4.kd
    .uniform_work_group_size: 1
    .uses_dynamic_stack: false
    .vgpr_count:     44
    .vgpr_spill_count: 0
    .wavefront_size: 64
  - .args:
      - .address_space:  global
        .offset:         0
        .size:           8
        .value_kind:     global_buffer
      - .address_space:  global
        .offset:         8
        .size:           8
        .value_kind:     global_buffer
      - .address_space:  global
        .offset:         16
        .size:           8
        .value_kind:     global_buffer
      - .offset:         24
        .size:           4
        .value_kind:     by_value
      - .address_space:  global
        .offset:         32
        .size:           8
        .value_kind:     global_buffer
      - .offset:         40
        .size:           4
        .value_kind:     by_value
      - .address_space:  global
        .offset:         48
        .size:           8
        .value_kind:     global_buffer
      - .offset:         56
        .size:           4
        .value_kind:     by_value
      - .offset:         60
        .size:           4
        .value_kind:     by_value
      - .offset:         64
        .size:           4
        .value_kind:     by_value
      - .offset:         68
        .size:           4
        .value_kind:     by_value
      - .offset:         72
        .size:           4
        .value_kind:     by_value
      - .offset:         76
        .size:           4
        .value_kind:     by_value
      - .offset:         80
        .size:           1
        .value_kind:     by_value
      - .offset:         81
        .size:           1
        .value_kind:     by_value
      - .offset:         88
        .size:           4
        .value_kind:     hidden_block_count_x
      - .offset:         92
        .size:           4
        .value_kind:     hidden_block_count_y
      - .offset:         96
        .size:           4
        .value_kind:     hidden_block_count_z
      - .offset:         100
        .size:           2
        .value_kind:     hidden_group_size_x
      - .offset:         102
        .size:           2
        .value_kind:     hidden_group_size_y
      - .offset:         104
        .size:           2
        .value_kind:     hidden_group_size_z
      - .offset:         106
        .size:           2
        .value_kind:     hidden_remainder_x
      - .offset:         108
        .size:           2
        .value_kind:     hidden_remainder_y
      - .offset:         110
        .size:           2
        .value_kind:     hidden_remainder_z
      - .offset:         128
        .size:           8
        .value_kind:     hidden_global_offset_x
      - .offset:         136
        .size:           8
        .value_kind:     hidden_global_offset_y
      - .offset:         144
        .size:           8
        .value_kind:     hidden_global_offset_z
      - .offset:         152
        .size:           2
        .value_kind:     hidden_grid_dims
      - .offset:         168
        .size:           8
        .value_kind:     hidden_hostcall_buffer
    .group_segment_fixed_size: 0
    .kernarg_segment_align: 8
    .kernarg_segment_size: 344
    .language:       OpenCL C
    .language_version:
      - 2
      - 0
    .max_flat_workgroup_size: 1024
    .name:           Transform_BF16_S_000_16_16_VW_1
    .private_segment_fixed_size: 64
    .sgpr_count:     40
    .sgpr_spill_count: 0
    .symbol:         Transform_BF16_S_000_16_16_VW_1.kd
    .uniform_work_group_size: 1
    .uses_dynamic_stack: false
    .vgpr_count:     42
    .vgpr_spill_count: 0
    .wavefront_size: 64
  - .args:
      - .address_space:  global
        .offset:         0
        .size:           8
        .value_kind:     global_buffer
      - .address_space:  global
        .offset:         8
        .size:           8
        .value_kind:     global_buffer
      - .address_space:  global
        .offset:         16
        .size:           8
        .value_kind:     global_buffer
      - .offset:         24
        .size:           4
        .value_kind:     by_value
      - .address_space:  global
        .offset:         32
        .size:           8
        .value_kind:     global_buffer
      - .offset:         40
        .size:           4
        .value_kind:     by_value
      - .address_space:  global
        .offset:         48
        .size:           8
        .value_kind:     global_buffer
      - .offset:         56
        .size:           4
        .value_kind:     by_value
      - .offset:         60
        .size:           4
        .value_kind:     by_value
      - .offset:         64
        .size:           4
        .value_kind:     by_value
      - .offset:         68
        .size:           4
        .value_kind:     by_value
      - .offset:         72
        .size:           4
        .value_kind:     by_value
      - .offset:         76
        .size:           4
        .value_kind:     by_value
      - .offset:         80
        .size:           1
        .value_kind:     by_value
      - .offset:         81
        .size:           1
        .value_kind:     by_value
      - .offset:         88
        .size:           4
        .value_kind:     hidden_block_count_x
      - .offset:         92
        .size:           4
        .value_kind:     hidden_block_count_y
      - .offset:         96
        .size:           4
        .value_kind:     hidden_block_count_z
      - .offset:         100
        .size:           2
        .value_kind:     hidden_group_size_x
      - .offset:         102
        .size:           2
        .value_kind:     hidden_group_size_y
      - .offset:         104
        .size:           2
        .value_kind:     hidden_group_size_z
      - .offset:         106
        .size:           2
        .value_kind:     hidden_remainder_x
      - .offset:         108
        .size:           2
        .value_kind:     hidden_remainder_y
      - .offset:         110
        .size:           2
        .value_kind:     hidden_remainder_z
      - .offset:         128
        .size:           8
        .value_kind:     hidden_global_offset_x
      - .offset:         136
        .size:           8
        .value_kind:     hidden_global_offset_y
      - .offset:         144
        .size:           8
        .value_kind:     hidden_global_offset_z
      - .offset:         152
        .size:           2
        .value_kind:     hidden_grid_dims
      - .offset:         168
        .size:           8
        .value_kind:     hidden_hostcall_buffer
    .group_segment_fixed_size: 8192
    .kernarg_segment_align: 8
    .kernarg_segment_size: 344
    .language:       OpenCL C
    .language_version:
      - 2
      - 0
    .max_flat_workgroup_size: 1024
    .name:           Transform_BF16_S_000_16_16_VW_4
    .private_segment_fixed_size: 64
    .sgpr_count:     42
    .sgpr_spill_count: 0
    .symbol:         Transform_BF16_S_000_16_16_VW_4.kd
    .uniform_work_group_size: 1
    .uses_dynamic_stack: false
    .vgpr_count:     44
    .vgpr_spill_count: 0
    .wavefront_size: 64
  - .args:
      - .address_space:  global
        .offset:         0
        .size:           8
        .value_kind:     global_buffer
      - .address_space:  global
        .offset:         8
        .size:           8
        .value_kind:     global_buffer
      - .address_space:  global
        .offset:         16
        .size:           8
        .value_kind:     global_buffer
      - .offset:         24
        .size:           4
        .value_kind:     by_value
      - .address_space:  global
        .offset:         32
        .size:           8
        .value_kind:     global_buffer
      - .offset:         40
        .size:           4
        .value_kind:     by_value
      - .address_space:  global
        .offset:         48
        .size:           8
        .value_kind:     global_buffer
      - .offset:         56
        .size:           4
        .value_kind:     by_value
      - .offset:         60
        .size:           4
        .value_kind:     by_value
      - .offset:         64
        .size:           4
        .value_kind:     by_value
      - .offset:         68
        .size:           4
        .value_kind:     by_value
      - .offset:         72
        .size:           4
        .value_kind:     by_value
      - .offset:         76
        .size:           4
        .value_kind:     by_value
      - .offset:         80
        .size:           1
        .value_kind:     by_value
      - .offset:         81
        .size:           1
        .value_kind:     by_value
      - .offset:         88
        .size:           4
        .value_kind:     hidden_block_count_x
      - .offset:         92
        .size:           4
        .value_kind:     hidden_block_count_y
      - .offset:         96
        .size:           4
        .value_kind:     hidden_block_count_z
      - .offset:         100
        .size:           2
        .value_kind:     hidden_group_size_x
      - .offset:         102
        .size:           2
        .value_kind:     hidden_group_size_y
      - .offset:         104
        .size:           2
        .value_kind:     hidden_group_size_z
      - .offset:         106
        .size:           2
        .value_kind:     hidden_remainder_x
      - .offset:         108
        .size:           2
        .value_kind:     hidden_remainder_y
      - .offset:         110
        .size:           2
        .value_kind:     hidden_remainder_z
      - .offset:         128
        .size:           8
        .value_kind:     hidden_global_offset_x
      - .offset:         136
        .size:           8
        .value_kind:     hidden_global_offset_y
      - .offset:         144
        .size:           8
        .value_kind:     hidden_global_offset_z
      - .offset:         152
        .size:           2
        .value_kind:     hidden_grid_dims
      - .offset:         168
        .size:           8
        .value_kind:     hidden_hostcall_buffer
    .group_segment_fixed_size: 0
    .kernarg_segment_align: 8
    .kernarg_segment_size: 344
    .language:       OpenCL C
    .language_version:
      - 2
      - 0
    .max_flat_workgroup_size: 1024
    .name:           Transform_I8_S_111_16_16_VW_1
    .private_segment_fixed_size: 64
    .sgpr_count:     40
    .sgpr_spill_count: 0
    .symbol:         Transform_I8_S_111_16_16_VW_1.kd
    .uniform_work_group_size: 1
    .uses_dynamic_stack: false
    .vgpr_count:     42
    .vgpr_spill_count: 0
    .wavefront_size: 64
  - .args:
      - .address_space:  global
        .offset:         0
        .size:           8
        .value_kind:     global_buffer
      - .address_space:  global
        .offset:         8
        .size:           8
        .value_kind:     global_buffer
      - .address_space:  global
        .offset:         16
        .size:           8
        .value_kind:     global_buffer
      - .offset:         24
        .size:           4
        .value_kind:     by_value
      - .address_space:  global
        .offset:         32
        .size:           8
        .value_kind:     global_buffer
      - .offset:         40
        .size:           4
        .value_kind:     by_value
      - .address_space:  global
        .offset:         48
        .size:           8
        .value_kind:     global_buffer
      - .offset:         56
        .size:           4
        .value_kind:     by_value
      - .offset:         60
        .size:           4
        .value_kind:     by_value
      - .offset:         64
        .size:           4
        .value_kind:     by_value
      - .offset:         68
        .size:           4
        .value_kind:     by_value
      - .offset:         72
        .size:           4
        .value_kind:     by_value
      - .offset:         76
        .size:           4
        .value_kind:     by_value
      - .offset:         80
        .size:           1
        .value_kind:     by_value
      - .offset:         81
        .size:           1
        .value_kind:     by_value
      - .offset:         88
        .size:           4
        .value_kind:     hidden_block_count_x
      - .offset:         92
        .size:           4
        .value_kind:     hidden_block_count_y
      - .offset:         96
        .size:           4
        .value_kind:     hidden_block_count_z
      - .offset:         100
        .size:           2
        .value_kind:     hidden_group_size_x
      - .offset:         102
        .size:           2
        .value_kind:     hidden_group_size_y
      - .offset:         104
        .size:           2
        .value_kind:     hidden_group_size_z
      - .offset:         106
        .size:           2
        .value_kind:     hidden_remainder_x
      - .offset:         108
        .size:           2
        .value_kind:     hidden_remainder_y
      - .offset:         110
        .size:           2
        .value_kind:     hidden_remainder_z
      - .offset:         128
        .size:           8
        .value_kind:     hidden_global_offset_x
      - .offset:         136
        .size:           8
        .value_kind:     hidden_global_offset_y
      - .offset:         144
        .size:           8
        .value_kind:     hidden_global_offset_z
      - .offset:         152
        .size:           2
        .value_kind:     hidden_grid_dims
      - .offset:         168
        .size:           8
        .value_kind:     hidden_hostcall_buffer
    .group_segment_fixed_size: 4096
    .kernarg_segment_align: 8
    .kernarg_segment_size: 344
    .language:       OpenCL C
    .language_version:
      - 2
      - 0
    .max_flat_workgroup_size: 1024
    .name:           Transform_I8_S_111_16_16_VW_4
    .private_segment_fixed_size: 64
    .sgpr_count:     42
    .sgpr_spill_count: 0
    .symbol:         Transform_I8_S_111_16_16_VW_4.kd
    .uniform_work_group_size: 1
    .uses_dynamic_stack: false
    .vgpr_count:     44
    .vgpr_spill_count: 0
    .wavefront_size: 64
  - .args:
      - .address_space:  global
        .offset:         0
        .size:           8
        .value_kind:     global_buffer
      - .address_space:  global
        .offset:         8
        .size:           8
        .value_kind:     global_buffer
      - .address_space:  global
        .offset:         16
        .size:           8
        .value_kind:     global_buffer
      - .offset:         24
        .size:           4
        .value_kind:     by_value
      - .address_space:  global
        .offset:         32
        .size:           8
        .value_kind:     global_buffer
      - .offset:         40
        .size:           4
        .value_kind:     by_value
      - .address_space:  global
        .offset:         48
        .size:           8
        .value_kind:     global_buffer
      - .offset:         56
        .size:           4
        .value_kind:     by_value
      - .offset:         60
        .size:           4
        .value_kind:     by_value
      - .offset:         64
        .size:           4
        .value_kind:     by_value
      - .offset:         68
        .size:           4
        .value_kind:     by_value
      - .offset:         72
        .size:           4
        .value_kind:     by_value
      - .offset:         76
        .size:           4
        .value_kind:     by_value
      - .offset:         80
        .size:           1
        .value_kind:     by_value
      - .offset:         81
        .size:           1
        .value_kind:     by_value
      - .offset:         88
        .size:           4
        .value_kind:     hidden_block_count_x
      - .offset:         92
        .size:           4
        .value_kind:     hidden_block_count_y
      - .offset:         96
        .size:           4
        .value_kind:     hidden_block_count_z
      - .offset:         100
        .size:           2
        .value_kind:     hidden_group_size_x
      - .offset:         102
        .size:           2
        .value_kind:     hidden_group_size_y
      - .offset:         104
        .size:           2
        .value_kind:     hidden_group_size_z
      - .offset:         106
        .size:           2
        .value_kind:     hidden_remainder_x
      - .offset:         108
        .size:           2
        .value_kind:     hidden_remainder_y
      - .offset:         110
        .size:           2
        .value_kind:     hidden_remainder_z
      - .offset:         128
        .size:           8
        .value_kind:     hidden_global_offset_x
      - .offset:         136
        .size:           8
        .value_kind:     hidden_global_offset_y
      - .offset:         144
        .size:           8
        .value_kind:     hidden_global_offset_z
      - .offset:         152
        .size:           2
        .value_kind:     hidden_grid_dims
      - .offset:         168
        .size:           8
        .value_kind:     hidden_hostcall_buffer
    .group_segment_fixed_size: 0
    .kernarg_segment_align: 8
    .kernarg_segment_size: 344
    .language:       OpenCL C
    .language_version:
      - 2
      - 0
    .max_flat_workgroup_size: 1024
    .name:           Transform_I8_S_110_16_16_VW_1
    .private_segment_fixed_size: 64
    .sgpr_count:     40
    .sgpr_spill_count: 0
    .symbol:         Transform_I8_S_110_16_16_VW_1.kd
    .uniform_work_group_size: 1
    .uses_dynamic_stack: false
    .vgpr_count:     42
    .vgpr_spill_count: 0
    .wavefront_size: 64
  - .args:
      - .address_space:  global
        .offset:         0
        .size:           8
        .value_kind:     global_buffer
      - .address_space:  global
        .offset:         8
        .size:           8
        .value_kind:     global_buffer
      - .address_space:  global
        .offset:         16
        .size:           8
        .value_kind:     global_buffer
      - .offset:         24
        .size:           4
        .value_kind:     by_value
      - .address_space:  global
        .offset:         32
        .size:           8
        .value_kind:     global_buffer
      - .offset:         40
        .size:           4
        .value_kind:     by_value
      - .address_space:  global
        .offset:         48
        .size:           8
        .value_kind:     global_buffer
      - .offset:         56
        .size:           4
        .value_kind:     by_value
      - .offset:         60
        .size:           4
        .value_kind:     by_value
      - .offset:         64
        .size:           4
        .value_kind:     by_value
      - .offset:         68
        .size:           4
        .value_kind:     by_value
      - .offset:         72
        .size:           4
        .value_kind:     by_value
      - .offset:         76
        .size:           4
        .value_kind:     by_value
      - .offset:         80
        .size:           1
        .value_kind:     by_value
      - .offset:         81
        .size:           1
        .value_kind:     by_value
      - .offset:         88
        .size:           4
        .value_kind:     hidden_block_count_x
      - .offset:         92
        .size:           4
        .value_kind:     hidden_block_count_y
      - .offset:         96
        .size:           4
        .value_kind:     hidden_block_count_z
      - .offset:         100
        .size:           2
        .value_kind:     hidden_group_size_x
      - .offset:         102
        .size:           2
        .value_kind:     hidden_group_size_y
      - .offset:         104
        .size:           2
        .value_kind:     hidden_group_size_z
      - .offset:         106
        .size:           2
        .value_kind:     hidden_remainder_x
      - .offset:         108
        .size:           2
        .value_kind:     hidden_remainder_y
      - .offset:         110
        .size:           2
        .value_kind:     hidden_remainder_z
      - .offset:         128
        .size:           8
        .value_kind:     hidden_global_offset_x
      - .offset:         136
        .size:           8
        .value_kind:     hidden_global_offset_y
      - .offset:         144
        .size:           8
        .value_kind:     hidden_global_offset_z
      - .offset:         152
        .size:           2
        .value_kind:     hidden_grid_dims
      - .offset:         168
        .size:           8
        .value_kind:     hidden_hostcall_buffer
    .group_segment_fixed_size: 4096
    .kernarg_segment_align: 8
    .kernarg_segment_size: 344
    .language:       OpenCL C
    .language_version:
      - 2
      - 0
    .max_flat_workgroup_size: 1024
    .name:           Transform_I8_S_110_16_16_VW_4
    .private_segment_fixed_size: 64
    .sgpr_count:     42
    .sgpr_spill_count: 0
    .symbol:         Transform_I8_S_110_16_16_VW_4.kd
    .uniform_work_group_size: 1
    .uses_dynamic_stack: false
    .vgpr_count:     44
    .vgpr_spill_count: 0
    .wavefront_size: 64
  - .args:
      - .address_space:  global
        .offset:         0
        .size:           8
        .value_kind:     global_buffer
      - .address_space:  global
        .offset:         8
        .size:           8
        .value_kind:     global_buffer
      - .address_space:  global
        .offset:         16
        .size:           8
        .value_kind:     global_buffer
      - .offset:         24
        .size:           4
        .value_kind:     by_value
      - .address_space:  global
        .offset:         32
        .size:           8
        .value_kind:     global_buffer
      - .offset:         40
        .size:           4
        .value_kind:     by_value
      - .address_space:  global
        .offset:         48
        .size:           8
        .value_kind:     global_buffer
      - .offset:         56
        .size:           4
        .value_kind:     by_value
      - .offset:         60
        .size:           4
        .value_kind:     by_value
      - .offset:         64
        .size:           4
        .value_kind:     by_value
      - .offset:         68
        .size:           4
        .value_kind:     by_value
      - .offset:         72
        .size:           4
        .value_kind:     by_value
      - .offset:         76
        .size:           4
        .value_kind:     by_value
      - .offset:         80
        .size:           1
        .value_kind:     by_value
      - .offset:         81
        .size:           1
        .value_kind:     by_value
      - .offset:         88
        .size:           4
        .value_kind:     hidden_block_count_x
      - .offset:         92
        .size:           4
        .value_kind:     hidden_block_count_y
      - .offset:         96
        .size:           4
        .value_kind:     hidden_block_count_z
      - .offset:         100
        .size:           2
        .value_kind:     hidden_group_size_x
      - .offset:         102
        .size:           2
        .value_kind:     hidden_group_size_y
      - .offset:         104
        .size:           2
        .value_kind:     hidden_group_size_z
      - .offset:         106
        .size:           2
        .value_kind:     hidden_remainder_x
      - .offset:         108
        .size:           2
        .value_kind:     hidden_remainder_y
      - .offset:         110
        .size:           2
        .value_kind:     hidden_remainder_z
      - .offset:         128
        .size:           8
        .value_kind:     hidden_global_offset_x
      - .offset:         136
        .size:           8
        .value_kind:     hidden_global_offset_y
      - .offset:         144
        .size:           8
        .value_kind:     hidden_global_offset_z
      - .offset:         152
        .size:           2
        .value_kind:     hidden_grid_dims
      - .offset:         168
        .size:           8
        .value_kind:     hidden_hostcall_buffer
    .group_segment_fixed_size: 0
    .kernarg_segment_align: 8
    .kernarg_segment_size: 344
    .language:       OpenCL C
    .language_version:
      - 2
      - 0
    .max_flat_workgroup_size: 1024
    .name:           Transform_I8_S_101_16_16_VW_1
    .private_segment_fixed_size: 64
    .sgpr_count:     40
    .sgpr_spill_count: 0
    .symbol:         Transform_I8_S_101_16_16_VW_1.kd
    .uniform_work_group_size: 1
    .uses_dynamic_stack: false
    .vgpr_count:     42
    .vgpr_spill_count: 0
    .wavefront_size: 64
  - .args:
      - .address_space:  global
        .offset:         0
        .size:           8
        .value_kind:     global_buffer
      - .address_space:  global
        .offset:         8
        .size:           8
        .value_kind:     global_buffer
      - .address_space:  global
        .offset:         16
        .size:           8
        .value_kind:     global_buffer
      - .offset:         24
        .size:           4
        .value_kind:     by_value
      - .address_space:  global
        .offset:         32
        .size:           8
        .value_kind:     global_buffer
      - .offset:         40
        .size:           4
        .value_kind:     by_value
      - .address_space:  global
        .offset:         48
        .size:           8
        .value_kind:     global_buffer
      - .offset:         56
        .size:           4
        .value_kind:     by_value
      - .offset:         60
        .size:           4
        .value_kind:     by_value
      - .offset:         64
        .size:           4
        .value_kind:     by_value
      - .offset:         68
        .size:           4
        .value_kind:     by_value
      - .offset:         72
        .size:           4
        .value_kind:     by_value
      - .offset:         76
        .size:           4
        .value_kind:     by_value
      - .offset:         80
        .size:           1
        .value_kind:     by_value
      - .offset:         81
        .size:           1
        .value_kind:     by_value
      - .offset:         88
        .size:           4
        .value_kind:     hidden_block_count_x
      - .offset:         92
        .size:           4
        .value_kind:     hidden_block_count_y
      - .offset:         96
        .size:           4
        .value_kind:     hidden_block_count_z
      - .offset:         100
        .size:           2
        .value_kind:     hidden_group_size_x
      - .offset:         102
        .size:           2
        .value_kind:     hidden_group_size_y
      - .offset:         104
        .size:           2
        .value_kind:     hidden_group_size_z
      - .offset:         106
        .size:           2
        .value_kind:     hidden_remainder_x
      - .offset:         108
        .size:           2
        .value_kind:     hidden_remainder_y
      - .offset:         110
        .size:           2
        .value_kind:     hidden_remainder_z
      - .offset:         128
        .size:           8
        .value_kind:     hidden_global_offset_x
      - .offset:         136
        .size:           8
        .value_kind:     hidden_global_offset_y
      - .offset:         144
        .size:           8
        .value_kind:     hidden_global_offset_z
      - .offset:         152
        .size:           2
        .value_kind:     hidden_grid_dims
      - .offset:         168
        .size:           8
        .value_kind:     hidden_hostcall_buffer
    .group_segment_fixed_size: 4096
    .kernarg_segment_align: 8
    .kernarg_segment_size: 344
    .language:       OpenCL C
    .language_version:
      - 2
      - 0
    .max_flat_workgroup_size: 1024
    .name:           Transform_I8_S_101_16_16_VW_4
    .private_segment_fixed_size: 64
    .sgpr_count:     42
    .sgpr_spill_count: 0
    .symbol:         Transform_I8_S_101_16_16_VW_4.kd
    .uniform_work_group_size: 1
    .uses_dynamic_stack: false
    .vgpr_count:     44
    .vgpr_spill_count: 0
    .wavefront_size: 64
  - .args:
      - .address_space:  global
        .offset:         0
        .size:           8
        .value_kind:     global_buffer
      - .address_space:  global
        .offset:         8
        .size:           8
        .value_kind:     global_buffer
      - .address_space:  global
        .offset:         16
        .size:           8
        .value_kind:     global_buffer
      - .offset:         24
        .size:           4
        .value_kind:     by_value
      - .address_space:  global
        .offset:         32
        .size:           8
        .value_kind:     global_buffer
      - .offset:         40
        .size:           4
        .value_kind:     by_value
      - .address_space:  global
        .offset:         48
        .size:           8
        .value_kind:     global_buffer
      - .offset:         56
        .size:           4
        .value_kind:     by_value
      - .offset:         60
        .size:           4
        .value_kind:     by_value
      - .offset:         64
        .size:           4
        .value_kind:     by_value
      - .offset:         68
        .size:           4
        .value_kind:     by_value
      - .offset:         72
        .size:           4
        .value_kind:     by_value
      - .offset:         76
        .size:           4
        .value_kind:     by_value
      - .offset:         80
        .size:           1
        .value_kind:     by_value
      - .offset:         81
        .size:           1
        .value_kind:     by_value
      - .offset:         88
        .size:           4
        .value_kind:     hidden_block_count_x
      - .offset:         92
        .size:           4
        .value_kind:     hidden_block_count_y
      - .offset:         96
        .size:           4
        .value_kind:     hidden_block_count_z
      - .offset:         100
        .size:           2
        .value_kind:     hidden_group_size_x
      - .offset:         102
        .size:           2
        .value_kind:     hidden_group_size_y
      - .offset:         104
        .size:           2
        .value_kind:     hidden_group_size_z
      - .offset:         106
        .size:           2
        .value_kind:     hidden_remainder_x
      - .offset:         108
        .size:           2
        .value_kind:     hidden_remainder_y
      - .offset:         110
        .size:           2
        .value_kind:     hidden_remainder_z
      - .offset:         128
        .size:           8
        .value_kind:     hidden_global_offset_x
      - .offset:         136
        .size:           8
        .value_kind:     hidden_global_offset_y
      - .offset:         144
        .size:           8
        .value_kind:     hidden_global_offset_z
      - .offset:         152
        .size:           2
        .value_kind:     hidden_grid_dims
      - .offset:         168
        .size:           8
        .value_kind:     hidden_hostcall_buffer
    .group_segment_fixed_size: 0
    .kernarg_segment_align: 8
    .kernarg_segment_size: 344
    .language:       OpenCL C
    .language_version:
      - 2
      - 0
    .max_flat_workgroup_size: 1024
    .name:           Transform_I8_S_100_16_16_VW_1
    .private_segment_fixed_size: 64
    .sgpr_count:     40
    .sgpr_spill_count: 0
    .symbol:         Transform_I8_S_100_16_16_VW_1.kd
    .uniform_work_group_size: 1
    .uses_dynamic_stack: false
    .vgpr_count:     42
    .vgpr_spill_count: 0
    .wavefront_size: 64
  - .args:
      - .address_space:  global
        .offset:         0
        .size:           8
        .value_kind:     global_buffer
      - .address_space:  global
        .offset:         8
        .size:           8
        .value_kind:     global_buffer
      - .address_space:  global
        .offset:         16
        .size:           8
        .value_kind:     global_buffer
      - .offset:         24
        .size:           4
        .value_kind:     by_value
      - .address_space:  global
        .offset:         32
        .size:           8
        .value_kind:     global_buffer
      - .offset:         40
        .size:           4
        .value_kind:     by_value
      - .address_space:  global
        .offset:         48
        .size:           8
        .value_kind:     global_buffer
      - .offset:         56
        .size:           4
        .value_kind:     by_value
      - .offset:         60
        .size:           4
        .value_kind:     by_value
      - .offset:         64
        .size:           4
        .value_kind:     by_value
      - .offset:         68
        .size:           4
        .value_kind:     by_value
      - .offset:         72
        .size:           4
        .value_kind:     by_value
      - .offset:         76
        .size:           4
        .value_kind:     by_value
      - .offset:         80
        .size:           1
        .value_kind:     by_value
      - .offset:         81
        .size:           1
        .value_kind:     by_value
      - .offset:         88
        .size:           4
        .value_kind:     hidden_block_count_x
      - .offset:         92
        .size:           4
        .value_kind:     hidden_block_count_y
      - .offset:         96
        .size:           4
        .value_kind:     hidden_block_count_z
      - .offset:         100
        .size:           2
        .value_kind:     hidden_group_size_x
      - .offset:         102
        .size:           2
        .value_kind:     hidden_group_size_y
      - .offset:         104
        .size:           2
        .value_kind:     hidden_group_size_z
      - .offset:         106
        .size:           2
        .value_kind:     hidden_remainder_x
      - .offset:         108
        .size:           2
        .value_kind:     hidden_remainder_y
      - .offset:         110
        .size:           2
        .value_kind:     hidden_remainder_z
      - .offset:         128
        .size:           8
        .value_kind:     hidden_global_offset_x
      - .offset:         136
        .size:           8
        .value_kind:     hidden_global_offset_y
      - .offset:         144
        .size:           8
        .value_kind:     hidden_global_offset_z
      - .offset:         152
        .size:           2
        .value_kind:     hidden_grid_dims
      - .offset:         168
        .size:           8
        .value_kind:     hidden_hostcall_buffer
    .group_segment_fixed_size: 4096
    .kernarg_segment_align: 8
    .kernarg_segment_size: 344
    .language:       OpenCL C
    .language_version:
      - 2
      - 0
    .max_flat_workgroup_size: 1024
    .name:           Transform_I8_S_100_16_16_VW_4
    .private_segment_fixed_size: 64
    .sgpr_count:     42
    .sgpr_spill_count: 0
    .symbol:         Transform_I8_S_100_16_16_VW_4.kd
    .uniform_work_group_size: 1
    .uses_dynamic_stack: false
    .vgpr_count:     44
    .vgpr_spill_count: 0
    .wavefront_size: 64
  - .args:
      - .address_space:  global
        .offset:         0
        .size:           8
        .value_kind:     global_buffer
      - .address_space:  global
        .offset:         8
        .size:           8
        .value_kind:     global_buffer
      - .address_space:  global
        .offset:         16
        .size:           8
        .value_kind:     global_buffer
      - .offset:         24
        .size:           4
        .value_kind:     by_value
      - .address_space:  global
        .offset:         32
        .size:           8
        .value_kind:     global_buffer
      - .offset:         40
        .size:           4
        .value_kind:     by_value
      - .address_space:  global
        .offset:         48
        .size:           8
        .value_kind:     global_buffer
      - .offset:         56
        .size:           4
        .value_kind:     by_value
      - .offset:         60
        .size:           4
        .value_kind:     by_value
      - .offset:         64
        .size:           4
        .value_kind:     by_value
      - .offset:         68
        .size:           4
        .value_kind:     by_value
      - .offset:         72
        .size:           4
        .value_kind:     by_value
      - .offset:         76
        .size:           4
        .value_kind:     by_value
      - .offset:         80
        .size:           1
        .value_kind:     by_value
      - .offset:         81
        .size:           1
        .value_kind:     by_value
      - .offset:         88
        .size:           4
        .value_kind:     hidden_block_count_x
      - .offset:         92
        .size:           4
        .value_kind:     hidden_block_count_y
      - .offset:         96
        .size:           4
        .value_kind:     hidden_block_count_z
      - .offset:         100
        .size:           2
        .value_kind:     hidden_group_size_x
      - .offset:         102
        .size:           2
        .value_kind:     hidden_group_size_y
      - .offset:         104
        .size:           2
        .value_kind:     hidden_group_size_z
      - .offset:         106
        .size:           2
        .value_kind:     hidden_remainder_x
      - .offset:         108
        .size:           2
        .value_kind:     hidden_remainder_y
      - .offset:         110
        .size:           2
        .value_kind:     hidden_remainder_z
      - .offset:         128
        .size:           8
        .value_kind:     hidden_global_offset_x
      - .offset:         136
        .size:           8
        .value_kind:     hidden_global_offset_y
      - .offset:         144
        .size:           8
        .value_kind:     hidden_global_offset_z
      - .offset:         152
        .size:           2
        .value_kind:     hidden_grid_dims
      - .offset:         168
        .size:           8
        .value_kind:     hidden_hostcall_buffer
    .group_segment_fixed_size: 0
    .kernarg_segment_align: 8
    .kernarg_segment_size: 344
    .language:       OpenCL C
    .language_version:
      - 2
      - 0
    .max_flat_workgroup_size: 1024
    .name:           Transform_I8_S_011_16_16_VW_1
    .private_segment_fixed_size: 64
    .sgpr_count:     40
    .sgpr_spill_count: 0
    .symbol:         Transform_I8_S_011_16_16_VW_1.kd
    .uniform_work_group_size: 1
    .uses_dynamic_stack: false
    .vgpr_count:     42
    .vgpr_spill_count: 0
    .wavefront_size: 64
  - .args:
      - .address_space:  global
        .offset:         0
        .size:           8
        .value_kind:     global_buffer
      - .address_space:  global
        .offset:         8
        .size:           8
        .value_kind:     global_buffer
      - .address_space:  global
        .offset:         16
        .size:           8
        .value_kind:     global_buffer
      - .offset:         24
        .size:           4
        .value_kind:     by_value
      - .address_space:  global
        .offset:         32
        .size:           8
        .value_kind:     global_buffer
      - .offset:         40
        .size:           4
        .value_kind:     by_value
      - .address_space:  global
        .offset:         48
        .size:           8
        .value_kind:     global_buffer
      - .offset:         56
        .size:           4
        .value_kind:     by_value
      - .offset:         60
        .size:           4
        .value_kind:     by_value
      - .offset:         64
        .size:           4
        .value_kind:     by_value
      - .offset:         68
        .size:           4
        .value_kind:     by_value
      - .offset:         72
        .size:           4
        .value_kind:     by_value
      - .offset:         76
        .size:           4
        .value_kind:     by_value
      - .offset:         80
        .size:           1
        .value_kind:     by_value
      - .offset:         81
        .size:           1
        .value_kind:     by_value
      - .offset:         88
        .size:           4
        .value_kind:     hidden_block_count_x
      - .offset:         92
        .size:           4
        .value_kind:     hidden_block_count_y
      - .offset:         96
        .size:           4
        .value_kind:     hidden_block_count_z
      - .offset:         100
        .size:           2
        .value_kind:     hidden_group_size_x
      - .offset:         102
        .size:           2
        .value_kind:     hidden_group_size_y
      - .offset:         104
        .size:           2
        .value_kind:     hidden_group_size_z
      - .offset:         106
        .size:           2
        .value_kind:     hidden_remainder_x
      - .offset:         108
        .size:           2
        .value_kind:     hidden_remainder_y
      - .offset:         110
        .size:           2
        .value_kind:     hidden_remainder_z
      - .offset:         128
        .size:           8
        .value_kind:     hidden_global_offset_x
      - .offset:         136
        .size:           8
        .value_kind:     hidden_global_offset_y
      - .offset:         144
        .size:           8
        .value_kind:     hidden_global_offset_z
      - .offset:         152
        .size:           2
        .value_kind:     hidden_grid_dims
      - .offset:         168
        .size:           8
        .value_kind:     hidden_hostcall_buffer
    .group_segment_fixed_size: 4096
    .kernarg_segment_align: 8
    .kernarg_segment_size: 344
    .language:       OpenCL C
    .language_version:
      - 2
      - 0
    .max_flat_workgroup_size: 1024
    .name:           Transform_I8_S_011_16_16_VW_4
    .private_segment_fixed_size: 64
    .sgpr_count:     42
    .sgpr_spill_count: 0
    .symbol:         Transform_I8_S_011_16_16_VW_4.kd
    .uniform_work_group_size: 1
    .uses_dynamic_stack: false
    .vgpr_count:     44
    .vgpr_spill_count: 0
    .wavefront_size: 64
  - .args:
      - .address_space:  global
        .offset:         0
        .size:           8
        .value_kind:     global_buffer
      - .address_space:  global
        .offset:         8
        .size:           8
        .value_kind:     global_buffer
      - .address_space:  global
        .offset:         16
        .size:           8
        .value_kind:     global_buffer
      - .offset:         24
        .size:           4
        .value_kind:     by_value
      - .address_space:  global
        .offset:         32
        .size:           8
        .value_kind:     global_buffer
      - .offset:         40
        .size:           4
        .value_kind:     by_value
      - .address_space:  global
        .offset:         48
        .size:           8
        .value_kind:     global_buffer
      - .offset:         56
        .size:           4
        .value_kind:     by_value
      - .offset:         60
        .size:           4
        .value_kind:     by_value
      - .offset:         64
        .size:           4
        .value_kind:     by_value
      - .offset:         68
        .size:           4
        .value_kind:     by_value
      - .offset:         72
        .size:           4
        .value_kind:     by_value
      - .offset:         76
        .size:           4
        .value_kind:     by_value
      - .offset:         80
        .size:           1
        .value_kind:     by_value
      - .offset:         81
        .size:           1
        .value_kind:     by_value
      - .offset:         88
        .size:           4
        .value_kind:     hidden_block_count_x
      - .offset:         92
        .size:           4
        .value_kind:     hidden_block_count_y
      - .offset:         96
        .size:           4
        .value_kind:     hidden_block_count_z
      - .offset:         100
        .size:           2
        .value_kind:     hidden_group_size_x
      - .offset:         102
        .size:           2
        .value_kind:     hidden_group_size_y
      - .offset:         104
        .size:           2
        .value_kind:     hidden_group_size_z
      - .offset:         106
        .size:           2
        .value_kind:     hidden_remainder_x
      - .offset:         108
        .size:           2
        .value_kind:     hidden_remainder_y
      - .offset:         110
        .size:           2
        .value_kind:     hidden_remainder_z
      - .offset:         128
        .size:           8
        .value_kind:     hidden_global_offset_x
      - .offset:         136
        .size:           8
        .value_kind:     hidden_global_offset_y
      - .offset:         144
        .size:           8
        .value_kind:     hidden_global_offset_z
      - .offset:         152
        .size:           2
        .value_kind:     hidden_grid_dims
      - .offset:         168
        .size:           8
        .value_kind:     hidden_hostcall_buffer
    .group_segment_fixed_size: 0
    .kernarg_segment_align: 8
    .kernarg_segment_size: 344
    .language:       OpenCL C
    .language_version:
      - 2
      - 0
    .max_flat_workgroup_size: 1024
    .name:           Transform_I8_S_010_16_16_VW_1
    .private_segment_fixed_size: 64
    .sgpr_count:     40
    .sgpr_spill_count: 0
    .symbol:         Transform_I8_S_010_16_16_VW_1.kd
    .uniform_work_group_size: 1
    .uses_dynamic_stack: false
    .vgpr_count:     42
    .vgpr_spill_count: 0
    .wavefront_size: 64
  - .args:
      - .address_space:  global
        .offset:         0
        .size:           8
        .value_kind:     global_buffer
      - .address_space:  global
        .offset:         8
        .size:           8
        .value_kind:     global_buffer
      - .address_space:  global
        .offset:         16
        .size:           8
        .value_kind:     global_buffer
      - .offset:         24
        .size:           4
        .value_kind:     by_value
      - .address_space:  global
        .offset:         32
        .size:           8
        .value_kind:     global_buffer
      - .offset:         40
        .size:           4
        .value_kind:     by_value
      - .address_space:  global
        .offset:         48
        .size:           8
        .value_kind:     global_buffer
      - .offset:         56
        .size:           4
        .value_kind:     by_value
      - .offset:         60
        .size:           4
        .value_kind:     by_value
      - .offset:         64
        .size:           4
        .value_kind:     by_value
      - .offset:         68
        .size:           4
        .value_kind:     by_value
      - .offset:         72
        .size:           4
        .value_kind:     by_value
      - .offset:         76
        .size:           4
        .value_kind:     by_value
      - .offset:         80
        .size:           1
        .value_kind:     by_value
      - .offset:         81
        .size:           1
        .value_kind:     by_value
      - .offset:         88
        .size:           4
        .value_kind:     hidden_block_count_x
      - .offset:         92
        .size:           4
        .value_kind:     hidden_block_count_y
      - .offset:         96
        .size:           4
        .value_kind:     hidden_block_count_z
      - .offset:         100
        .size:           2
        .value_kind:     hidden_group_size_x
      - .offset:         102
        .size:           2
        .value_kind:     hidden_group_size_y
      - .offset:         104
        .size:           2
        .value_kind:     hidden_group_size_z
      - .offset:         106
        .size:           2
        .value_kind:     hidden_remainder_x
      - .offset:         108
        .size:           2
        .value_kind:     hidden_remainder_y
      - .offset:         110
        .size:           2
        .value_kind:     hidden_remainder_z
      - .offset:         128
        .size:           8
        .value_kind:     hidden_global_offset_x
      - .offset:         136
        .size:           8
        .value_kind:     hidden_global_offset_y
      - .offset:         144
        .size:           8
        .value_kind:     hidden_global_offset_z
      - .offset:         152
        .size:           2
        .value_kind:     hidden_grid_dims
      - .offset:         168
        .size:           8
        .value_kind:     hidden_hostcall_buffer
    .group_segment_fixed_size: 4096
    .kernarg_segment_align: 8
    .kernarg_segment_size: 344
    .language:       OpenCL C
    .language_version:
      - 2
      - 0
    .max_flat_workgroup_size: 1024
    .name:           Transform_I8_S_010_16_16_VW_4
    .private_segment_fixed_size: 64
    .sgpr_count:     42
    .sgpr_spill_count: 0
    .symbol:         Transform_I8_S_010_16_16_VW_4.kd
    .uniform_work_group_size: 1
    .uses_dynamic_stack: false
    .vgpr_count:     44
    .vgpr_spill_count: 0
    .wavefront_size: 64
  - .args:
      - .address_space:  global
        .offset:         0
        .size:           8
        .value_kind:     global_buffer
      - .address_space:  global
        .offset:         8
        .size:           8
        .value_kind:     global_buffer
      - .address_space:  global
        .offset:         16
        .size:           8
        .value_kind:     global_buffer
      - .offset:         24
        .size:           4
        .value_kind:     by_value
      - .address_space:  global
        .offset:         32
        .size:           8
        .value_kind:     global_buffer
      - .offset:         40
        .size:           4
        .value_kind:     by_value
      - .address_space:  global
        .offset:         48
        .size:           8
        .value_kind:     global_buffer
      - .offset:         56
        .size:           4
        .value_kind:     by_value
      - .offset:         60
        .size:           4
        .value_kind:     by_value
      - .offset:         64
        .size:           4
        .value_kind:     by_value
      - .offset:         68
        .size:           4
        .value_kind:     by_value
      - .offset:         72
        .size:           4
        .value_kind:     by_value
      - .offset:         76
        .size:           4
        .value_kind:     by_value
      - .offset:         80
        .size:           1
        .value_kind:     by_value
      - .offset:         81
        .size:           1
        .value_kind:     by_value
      - .offset:         88
        .size:           4
        .value_kind:     hidden_block_count_x
      - .offset:         92
        .size:           4
        .value_kind:     hidden_block_count_y
      - .offset:         96
        .size:           4
        .value_kind:     hidden_block_count_z
      - .offset:         100
        .size:           2
        .value_kind:     hidden_group_size_x
      - .offset:         102
        .size:           2
        .value_kind:     hidden_group_size_y
      - .offset:         104
        .size:           2
        .value_kind:     hidden_group_size_z
      - .offset:         106
        .size:           2
        .value_kind:     hidden_remainder_x
      - .offset:         108
        .size:           2
        .value_kind:     hidden_remainder_y
      - .offset:         110
        .size:           2
        .value_kind:     hidden_remainder_z
      - .offset:         128
        .size:           8
        .value_kind:     hidden_global_offset_x
      - .offset:         136
        .size:           8
        .value_kind:     hidden_global_offset_y
      - .offset:         144
        .size:           8
        .value_kind:     hidden_global_offset_z
      - .offset:         152
        .size:           2
        .value_kind:     hidden_grid_dims
      - .offset:         168
        .size:           8
        .value_kind:     hidden_hostcall_buffer
    .group_segment_fixed_size: 0
    .kernarg_segment_align: 8
    .kernarg_segment_size: 344
    .language:       OpenCL C
    .language_version:
      - 2
      - 0
    .max_flat_workgroup_size: 1024
    .name:           Transform_I8_S_001_16_16_VW_1
    .private_segment_fixed_size: 64
    .sgpr_count:     40
    .sgpr_spill_count: 0
    .symbol:         Transform_I8_S_001_16_16_VW_1.kd
    .uniform_work_group_size: 1
    .uses_dynamic_stack: false
    .vgpr_count:     42
    .vgpr_spill_count: 0
    .wavefront_size: 64
  - .args:
      - .address_space:  global
        .offset:         0
        .size:           8
        .value_kind:     global_buffer
      - .address_space:  global
        .offset:         8
        .size:           8
        .value_kind:     global_buffer
      - .address_space:  global
        .offset:         16
        .size:           8
        .value_kind:     global_buffer
      - .offset:         24
        .size:           4
        .value_kind:     by_value
      - .address_space:  global
        .offset:         32
        .size:           8
        .value_kind:     global_buffer
      - .offset:         40
        .size:           4
        .value_kind:     by_value
      - .address_space:  global
        .offset:         48
        .size:           8
        .value_kind:     global_buffer
      - .offset:         56
        .size:           4
        .value_kind:     by_value
      - .offset:         60
        .size:           4
        .value_kind:     by_value
      - .offset:         64
        .size:           4
        .value_kind:     by_value
      - .offset:         68
        .size:           4
        .value_kind:     by_value
      - .offset:         72
        .size:           4
        .value_kind:     by_value
      - .offset:         76
        .size:           4
        .value_kind:     by_value
      - .offset:         80
        .size:           1
        .value_kind:     by_value
      - .offset:         81
        .size:           1
        .value_kind:     by_value
      - .offset:         88
        .size:           4
        .value_kind:     hidden_block_count_x
      - .offset:         92
        .size:           4
        .value_kind:     hidden_block_count_y
      - .offset:         96
        .size:           4
        .value_kind:     hidden_block_count_z
      - .offset:         100
        .size:           2
        .value_kind:     hidden_group_size_x
      - .offset:         102
        .size:           2
        .value_kind:     hidden_group_size_y
      - .offset:         104
        .size:           2
        .value_kind:     hidden_group_size_z
      - .offset:         106
        .size:           2
        .value_kind:     hidden_remainder_x
      - .offset:         108
        .size:           2
        .value_kind:     hidden_remainder_y
      - .offset:         110
        .size:           2
        .value_kind:     hidden_remainder_z
      - .offset:         128
        .size:           8
        .value_kind:     hidden_global_offset_x
      - .offset:         136
        .size:           8
        .value_kind:     hidden_global_offset_y
      - .offset:         144
        .size:           8
        .value_kind:     hidden_global_offset_z
      - .offset:         152
        .size:           2
        .value_kind:     hidden_grid_dims
      - .offset:         168
        .size:           8
        .value_kind:     hidden_hostcall_buffer
    .group_segment_fixed_size: 4096
    .kernarg_segment_align: 8
    .kernarg_segment_size: 344
    .language:       OpenCL C
    .language_version:
      - 2
      - 0
    .max_flat_workgroup_size: 1024
    .name:           Transform_I8_S_001_16_16_VW_4
    .private_segment_fixed_size: 64
    .sgpr_count:     42
    .sgpr_spill_count: 0
    .symbol:         Transform_I8_S_001_16_16_VW_4.kd
    .uniform_work_group_size: 1
    .uses_dynamic_stack: false
    .vgpr_count:     44
    .vgpr_spill_count: 0
    .wavefront_size: 64
  - .args:
      - .address_space:  global
        .offset:         0
        .size:           8
        .value_kind:     global_buffer
      - .address_space:  global
        .offset:         8
        .size:           8
        .value_kind:     global_buffer
      - .address_space:  global
        .offset:         16
        .size:           8
        .value_kind:     global_buffer
      - .offset:         24
        .size:           4
        .value_kind:     by_value
      - .address_space:  global
        .offset:         32
        .size:           8
        .value_kind:     global_buffer
      - .offset:         40
        .size:           4
        .value_kind:     by_value
      - .address_space:  global
        .offset:         48
        .size:           8
        .value_kind:     global_buffer
      - .offset:         56
        .size:           4
        .value_kind:     by_value
      - .offset:         60
        .size:           4
        .value_kind:     by_value
      - .offset:         64
        .size:           4
        .value_kind:     by_value
      - .offset:         68
        .size:           4
        .value_kind:     by_value
      - .offset:         72
        .size:           4
        .value_kind:     by_value
      - .offset:         76
        .size:           4
        .value_kind:     by_value
      - .offset:         80
        .size:           1
        .value_kind:     by_value
      - .offset:         81
        .size:           1
        .value_kind:     by_value
      - .offset:         88
        .size:           4
        .value_kind:     hidden_block_count_x
      - .offset:         92
        .size:           4
        .value_kind:     hidden_block_count_y
      - .offset:         96
        .size:           4
        .value_kind:     hidden_block_count_z
      - .offset:         100
        .size:           2
        .value_kind:     hidden_group_size_x
      - .offset:         102
        .size:           2
        .value_kind:     hidden_group_size_y
      - .offset:         104
        .size:           2
        .value_kind:     hidden_group_size_z
      - .offset:         106
        .size:           2
        .value_kind:     hidden_remainder_x
      - .offset:         108
        .size:           2
        .value_kind:     hidden_remainder_y
      - .offset:         110
        .size:           2
        .value_kind:     hidden_remainder_z
      - .offset:         128
        .size:           8
        .value_kind:     hidden_global_offset_x
      - .offset:         136
        .size:           8
        .value_kind:     hidden_global_offset_y
      - .offset:         144
        .size:           8
        .value_kind:     hidden_global_offset_z
      - .offset:         152
        .size:           2
        .value_kind:     hidden_grid_dims
      - .offset:         168
        .size:           8
        .value_kind:     hidden_hostcall_buffer
    .group_segment_fixed_size: 0
    .kernarg_segment_align: 8
    .kernarg_segment_size: 344
    .language:       OpenCL C
    .language_version:
      - 2
      - 0
    .max_flat_workgroup_size: 1024
    .name:           Transform_I8_S_000_16_16_VW_1
    .private_segment_fixed_size: 64
    .sgpr_count:     40
    .sgpr_spill_count: 0
    .symbol:         Transform_I8_S_000_16_16_VW_1.kd
    .uniform_work_group_size: 1
    .uses_dynamic_stack: false
    .vgpr_count:     42
    .vgpr_spill_count: 0
    .wavefront_size: 64
  - .args:
      - .address_space:  global
        .offset:         0
        .size:           8
        .value_kind:     global_buffer
      - .address_space:  global
        .offset:         8
        .size:           8
        .value_kind:     global_buffer
      - .address_space:  global
        .offset:         16
        .size:           8
        .value_kind:     global_buffer
      - .offset:         24
        .size:           4
        .value_kind:     by_value
      - .address_space:  global
        .offset:         32
        .size:           8
        .value_kind:     global_buffer
      - .offset:         40
        .size:           4
        .value_kind:     by_value
      - .address_space:  global
        .offset:         48
        .size:           8
        .value_kind:     global_buffer
      - .offset:         56
        .size:           4
        .value_kind:     by_value
      - .offset:         60
        .size:           4
        .value_kind:     by_value
      - .offset:         64
        .size:           4
        .value_kind:     by_value
      - .offset:         68
        .size:           4
        .value_kind:     by_value
      - .offset:         72
        .size:           4
        .value_kind:     by_value
      - .offset:         76
        .size:           4
        .value_kind:     by_value
      - .offset:         80
        .size:           1
        .value_kind:     by_value
      - .offset:         81
        .size:           1
        .value_kind:     by_value
      - .offset:         88
        .size:           4
        .value_kind:     hidden_block_count_x
      - .offset:         92
        .size:           4
        .value_kind:     hidden_block_count_y
      - .offset:         96
        .size:           4
        .value_kind:     hidden_block_count_z
      - .offset:         100
        .size:           2
        .value_kind:     hidden_group_size_x
      - .offset:         102
        .size:           2
        .value_kind:     hidden_group_size_y
      - .offset:         104
        .size:           2
        .value_kind:     hidden_group_size_z
      - .offset:         106
        .size:           2
        .value_kind:     hidden_remainder_x
      - .offset:         108
        .size:           2
        .value_kind:     hidden_remainder_y
      - .offset:         110
        .size:           2
        .value_kind:     hidden_remainder_z
      - .offset:         128
        .size:           8
        .value_kind:     hidden_global_offset_x
      - .offset:         136
        .size:           8
        .value_kind:     hidden_global_offset_y
      - .offset:         144
        .size:           8
        .value_kind:     hidden_global_offset_z
      - .offset:         152
        .size:           2
        .value_kind:     hidden_grid_dims
      - .offset:         168
        .size:           8
        .value_kind:     hidden_hostcall_buffer
    .group_segment_fixed_size: 4096
    .kernarg_segment_align: 8
    .kernarg_segment_size: 344
    .language:       OpenCL C
    .language_version:
      - 2
      - 0
    .max_flat_workgroup_size: 1024
    .name:           Transform_I8_S_000_16_16_VW_4
    .private_segment_fixed_size: 64
    .sgpr_count:     42
    .sgpr_spill_count: 0
    .symbol:         Transform_I8_S_000_16_16_VW_4.kd
    .uniform_work_group_size: 1
    .uses_dynamic_stack: false
    .vgpr_count:     44
    .vgpr_spill_count: 0
    .wavefront_size: 64
  - .args:
      - .address_space:  global
        .offset:         0
        .size:           8
        .value_kind:     global_buffer
      - .address_space:  global
        .offset:         8
        .size:           8
        .value_kind:     global_buffer
      - .address_space:  global
        .offset:         16
        .size:           8
        .value_kind:     global_buffer
      - .offset:         24
        .size:           4
        .value_kind:     by_value
      - .address_space:  global
        .offset:         32
        .size:           8
        .value_kind:     global_buffer
      - .offset:         40
        .size:           4
        .value_kind:     by_value
      - .address_space:  global
        .offset:         48
        .size:           8
        .value_kind:     global_buffer
      - .offset:         56
        .size:           4
        .value_kind:     by_value
      - .offset:         60
        .size:           4
        .value_kind:     by_value
      - .offset:         64
        .size:           4
        .value_kind:     by_value
      - .offset:         68
        .size:           4
        .value_kind:     by_value
      - .offset:         72
        .size:           4
        .value_kind:     by_value
      - .offset:         76
        .size:           4
        .value_kind:     by_value
      - .offset:         80
        .size:           1
        .value_kind:     by_value
      - .offset:         81
        .size:           1
        .value_kind:     by_value
      - .offset:         88
        .size:           4
        .value_kind:     hidden_block_count_x
      - .offset:         92
        .size:           4
        .value_kind:     hidden_block_count_y
      - .offset:         96
        .size:           4
        .value_kind:     hidden_block_count_z
      - .offset:         100
        .size:           2
        .value_kind:     hidden_group_size_x
      - .offset:         102
        .size:           2
        .value_kind:     hidden_group_size_y
      - .offset:         104
        .size:           2
        .value_kind:     hidden_group_size_z
      - .offset:         106
        .size:           2
        .value_kind:     hidden_remainder_x
      - .offset:         108
        .size:           2
        .value_kind:     hidden_remainder_y
      - .offset:         110
        .size:           2
        .value_kind:     hidden_remainder_z
      - .offset:         128
        .size:           8
        .value_kind:     hidden_global_offset_x
      - .offset:         136
        .size:           8
        .value_kind:     hidden_global_offset_y
      - .offset:         144
        .size:           8
        .value_kind:     hidden_global_offset_z
      - .offset:         152
        .size:           2
        .value_kind:     hidden_grid_dims
      - .offset:         168
        .size:           8
        .value_kind:     hidden_hostcall_buffer
    .group_segment_fixed_size: 0
    .kernarg_segment_align: 8
    .kernarg_segment_size: 344
    .language:       OpenCL C
    .language_version:
      - 2
      - 0
    .max_flat_workgroup_size: 1024
    .name:           Transform_I32_S_111_16_16_VW_1
    .private_segment_fixed_size: 64
    .sgpr_count:     40
    .sgpr_spill_count: 0
    .symbol:         Transform_I32_S_111_16_16_VW_1.kd
    .uniform_work_group_size: 1
    .uses_dynamic_stack: false
    .vgpr_count:     42
    .vgpr_spill_count: 0
    .wavefront_size: 64
  - .args:
      - .address_space:  global
        .offset:         0
        .size:           8
        .value_kind:     global_buffer
      - .address_space:  global
        .offset:         8
        .size:           8
        .value_kind:     global_buffer
      - .address_space:  global
        .offset:         16
        .size:           8
        .value_kind:     global_buffer
      - .offset:         24
        .size:           4
        .value_kind:     by_value
      - .address_space:  global
        .offset:         32
        .size:           8
        .value_kind:     global_buffer
      - .offset:         40
        .size:           4
        .value_kind:     by_value
      - .address_space:  global
        .offset:         48
        .size:           8
        .value_kind:     global_buffer
      - .offset:         56
        .size:           4
        .value_kind:     by_value
      - .offset:         60
        .size:           4
        .value_kind:     by_value
      - .offset:         64
        .size:           4
        .value_kind:     by_value
      - .offset:         68
        .size:           4
        .value_kind:     by_value
      - .offset:         72
        .size:           4
        .value_kind:     by_value
      - .offset:         76
        .size:           4
        .value_kind:     by_value
      - .offset:         80
        .size:           1
        .value_kind:     by_value
      - .offset:         81
        .size:           1
        .value_kind:     by_value
      - .offset:         88
        .size:           4
        .value_kind:     hidden_block_count_x
      - .offset:         92
        .size:           4
        .value_kind:     hidden_block_count_y
      - .offset:         96
        .size:           4
        .value_kind:     hidden_block_count_z
      - .offset:         100
        .size:           2
        .value_kind:     hidden_group_size_x
      - .offset:         102
        .size:           2
        .value_kind:     hidden_group_size_y
      - .offset:         104
        .size:           2
        .value_kind:     hidden_group_size_z
      - .offset:         106
        .size:           2
        .value_kind:     hidden_remainder_x
      - .offset:         108
        .size:           2
        .value_kind:     hidden_remainder_y
      - .offset:         110
        .size:           2
        .value_kind:     hidden_remainder_z
      - .offset:         128
        .size:           8
        .value_kind:     hidden_global_offset_x
      - .offset:         136
        .size:           8
        .value_kind:     hidden_global_offset_y
      - .offset:         144
        .size:           8
        .value_kind:     hidden_global_offset_z
      - .offset:         152
        .size:           2
        .value_kind:     hidden_grid_dims
      - .offset:         168
        .size:           8
        .value_kind:     hidden_hostcall_buffer
    .group_segment_fixed_size: 16384
    .kernarg_segment_align: 8
    .kernarg_segment_size: 344
    .language:       OpenCL C
    .language_version:
      - 2
      - 0
    .max_flat_workgroup_size: 1024
    .name:           Transform_I32_S_111_16_16_VW_4
    .private_segment_fixed_size: 64
    .sgpr_count:     42
    .sgpr_spill_count: 0
    .symbol:         Transform_I32_S_111_16_16_VW_4.kd
    .uniform_work_group_size: 1
    .uses_dynamic_stack: false
    .vgpr_count:     44
    .vgpr_spill_count: 0
    .wavefront_size: 64
  - .args:
      - .address_space:  global
        .offset:         0
        .size:           8
        .value_kind:     global_buffer
      - .address_space:  global
        .offset:         8
        .size:           8
        .value_kind:     global_buffer
      - .address_space:  global
        .offset:         16
        .size:           8
        .value_kind:     global_buffer
      - .offset:         24
        .size:           4
        .value_kind:     by_value
      - .address_space:  global
        .offset:         32
        .size:           8
        .value_kind:     global_buffer
      - .offset:         40
        .size:           4
        .value_kind:     by_value
      - .address_space:  global
        .offset:         48
        .size:           8
        .value_kind:     global_buffer
      - .offset:         56
        .size:           4
        .value_kind:     by_value
      - .offset:         60
        .size:           4
        .value_kind:     by_value
      - .offset:         64
        .size:           4
        .value_kind:     by_value
      - .offset:         68
        .size:           4
        .value_kind:     by_value
      - .offset:         72
        .size:           4
        .value_kind:     by_value
      - .offset:         76
        .size:           4
        .value_kind:     by_value
      - .offset:         80
        .size:           1
        .value_kind:     by_value
      - .offset:         81
        .size:           1
        .value_kind:     by_value
      - .offset:         88
        .size:           4
        .value_kind:     hidden_block_count_x
      - .offset:         92
        .size:           4
        .value_kind:     hidden_block_count_y
      - .offset:         96
        .size:           4
        .value_kind:     hidden_block_count_z
      - .offset:         100
        .size:           2
        .value_kind:     hidden_group_size_x
      - .offset:         102
        .size:           2
        .value_kind:     hidden_group_size_y
      - .offset:         104
        .size:           2
        .value_kind:     hidden_group_size_z
      - .offset:         106
        .size:           2
        .value_kind:     hidden_remainder_x
      - .offset:         108
        .size:           2
        .value_kind:     hidden_remainder_y
      - .offset:         110
        .size:           2
        .value_kind:     hidden_remainder_z
      - .offset:         128
        .size:           8
        .value_kind:     hidden_global_offset_x
      - .offset:         136
        .size:           8
        .value_kind:     hidden_global_offset_y
      - .offset:         144
        .size:           8
        .value_kind:     hidden_global_offset_z
      - .offset:         152
        .size:           2
        .value_kind:     hidden_grid_dims
      - .offset:         168
        .size:           8
        .value_kind:     hidden_hostcall_buffer
    .group_segment_fixed_size: 0
    .kernarg_segment_align: 8
    .kernarg_segment_size: 344
    .language:       OpenCL C
    .language_version:
      - 2
      - 0
    .max_flat_workgroup_size: 1024
    .name:           Transform_I32_S_110_16_16_VW_1
    .private_segment_fixed_size: 64
    .sgpr_count:     40
    .sgpr_spill_count: 0
    .symbol:         Transform_I32_S_110_16_16_VW_1.kd
    .uniform_work_group_size: 1
    .uses_dynamic_stack: false
    .vgpr_count:     42
    .vgpr_spill_count: 0
    .wavefront_size: 64
  - .args:
      - .address_space:  global
        .offset:         0
        .size:           8
        .value_kind:     global_buffer
      - .address_space:  global
        .offset:         8
        .size:           8
        .value_kind:     global_buffer
      - .address_space:  global
        .offset:         16
        .size:           8
        .value_kind:     global_buffer
      - .offset:         24
        .size:           4
        .value_kind:     by_value
      - .address_space:  global
        .offset:         32
        .size:           8
        .value_kind:     global_buffer
      - .offset:         40
        .size:           4
        .value_kind:     by_value
      - .address_space:  global
        .offset:         48
        .size:           8
        .value_kind:     global_buffer
      - .offset:         56
        .size:           4
        .value_kind:     by_value
      - .offset:         60
        .size:           4
        .value_kind:     by_value
      - .offset:         64
        .size:           4
        .value_kind:     by_value
      - .offset:         68
        .size:           4
        .value_kind:     by_value
      - .offset:         72
        .size:           4
        .value_kind:     by_value
      - .offset:         76
        .size:           4
        .value_kind:     by_value
      - .offset:         80
        .size:           1
        .value_kind:     by_value
      - .offset:         81
        .size:           1
        .value_kind:     by_value
      - .offset:         88
        .size:           4
        .value_kind:     hidden_block_count_x
      - .offset:         92
        .size:           4
        .value_kind:     hidden_block_count_y
      - .offset:         96
        .size:           4
        .value_kind:     hidden_block_count_z
      - .offset:         100
        .size:           2
        .value_kind:     hidden_group_size_x
      - .offset:         102
        .size:           2
        .value_kind:     hidden_group_size_y
      - .offset:         104
        .size:           2
        .value_kind:     hidden_group_size_z
      - .offset:         106
        .size:           2
        .value_kind:     hidden_remainder_x
      - .offset:         108
        .size:           2
        .value_kind:     hidden_remainder_y
      - .offset:         110
        .size:           2
        .value_kind:     hidden_remainder_z
      - .offset:         128
        .size:           8
        .value_kind:     hidden_global_offset_x
      - .offset:         136
        .size:           8
        .value_kind:     hidden_global_offset_y
      - .offset:         144
        .size:           8
        .value_kind:     hidden_global_offset_z
      - .offset:         152
        .size:           2
        .value_kind:     hidden_grid_dims
      - .offset:         168
        .size:           8
        .value_kind:     hidden_hostcall_buffer
    .group_segment_fixed_size: 16384
    .kernarg_segment_align: 8
    .kernarg_segment_size: 344
    .language:       OpenCL C
    .language_version:
      - 2
      - 0
    .max_flat_workgroup_size: 1024
    .name:           Transform_I32_S_110_16_16_VW_4
    .private_segment_fixed_size: 64
    .sgpr_count:     42
    .sgpr_spill_count: 0
    .symbol:         Transform_I32_S_110_16_16_VW_4.kd
    .uniform_work_group_size: 1
    .uses_dynamic_stack: false
    .vgpr_count:     44
    .vgpr_spill_count: 0
    .wavefront_size: 64
  - .args:
      - .address_space:  global
        .offset:         0
        .size:           8
        .value_kind:     global_buffer
      - .address_space:  global
        .offset:         8
        .size:           8
        .value_kind:     global_buffer
      - .address_space:  global
        .offset:         16
        .size:           8
        .value_kind:     global_buffer
      - .offset:         24
        .size:           4
        .value_kind:     by_value
      - .address_space:  global
        .offset:         32
        .size:           8
        .value_kind:     global_buffer
      - .offset:         40
        .size:           4
        .value_kind:     by_value
      - .address_space:  global
        .offset:         48
        .size:           8
        .value_kind:     global_buffer
      - .offset:         56
        .size:           4
        .value_kind:     by_value
      - .offset:         60
        .size:           4
        .value_kind:     by_value
      - .offset:         64
        .size:           4
        .value_kind:     by_value
      - .offset:         68
        .size:           4
        .value_kind:     by_value
      - .offset:         72
        .size:           4
        .value_kind:     by_value
      - .offset:         76
        .size:           4
        .value_kind:     by_value
      - .offset:         80
        .size:           1
        .value_kind:     by_value
      - .offset:         81
        .size:           1
        .value_kind:     by_value
      - .offset:         88
        .size:           4
        .value_kind:     hidden_block_count_x
      - .offset:         92
        .size:           4
        .value_kind:     hidden_block_count_y
      - .offset:         96
        .size:           4
        .value_kind:     hidden_block_count_z
      - .offset:         100
        .size:           2
        .value_kind:     hidden_group_size_x
      - .offset:         102
        .size:           2
        .value_kind:     hidden_group_size_y
      - .offset:         104
        .size:           2
        .value_kind:     hidden_group_size_z
      - .offset:         106
        .size:           2
        .value_kind:     hidden_remainder_x
      - .offset:         108
        .size:           2
        .value_kind:     hidden_remainder_y
      - .offset:         110
        .size:           2
        .value_kind:     hidden_remainder_z
      - .offset:         128
        .size:           8
        .value_kind:     hidden_global_offset_x
      - .offset:         136
        .size:           8
        .value_kind:     hidden_global_offset_y
      - .offset:         144
        .size:           8
        .value_kind:     hidden_global_offset_z
      - .offset:         152
        .size:           2
        .value_kind:     hidden_grid_dims
      - .offset:         168
        .size:           8
        .value_kind:     hidden_hostcall_buffer
    .group_segment_fixed_size: 0
    .kernarg_segment_align: 8
    .kernarg_segment_size: 344
    .language:       OpenCL C
    .language_version:
      - 2
      - 0
    .max_flat_workgroup_size: 1024
    .name:           Transform_I32_S_101_16_16_VW_1
    .private_segment_fixed_size: 64
    .sgpr_count:     40
    .sgpr_spill_count: 0
    .symbol:         Transform_I32_S_101_16_16_VW_1.kd
    .uniform_work_group_size: 1
    .uses_dynamic_stack: false
    .vgpr_count:     42
    .vgpr_spill_count: 0
    .wavefront_size: 64
  - .args:
      - .address_space:  global
        .offset:         0
        .size:           8
        .value_kind:     global_buffer
      - .address_space:  global
        .offset:         8
        .size:           8
        .value_kind:     global_buffer
      - .address_space:  global
        .offset:         16
        .size:           8
        .value_kind:     global_buffer
      - .offset:         24
        .size:           4
        .value_kind:     by_value
      - .address_space:  global
        .offset:         32
        .size:           8
        .value_kind:     global_buffer
      - .offset:         40
        .size:           4
        .value_kind:     by_value
      - .address_space:  global
        .offset:         48
        .size:           8
        .value_kind:     global_buffer
      - .offset:         56
        .size:           4
        .value_kind:     by_value
      - .offset:         60
        .size:           4
        .value_kind:     by_value
      - .offset:         64
        .size:           4
        .value_kind:     by_value
      - .offset:         68
        .size:           4
        .value_kind:     by_value
      - .offset:         72
        .size:           4
        .value_kind:     by_value
      - .offset:         76
        .size:           4
        .value_kind:     by_value
      - .offset:         80
        .size:           1
        .value_kind:     by_value
      - .offset:         81
        .size:           1
        .value_kind:     by_value
      - .offset:         88
        .size:           4
        .value_kind:     hidden_block_count_x
      - .offset:         92
        .size:           4
        .value_kind:     hidden_block_count_y
      - .offset:         96
        .size:           4
        .value_kind:     hidden_block_count_z
      - .offset:         100
        .size:           2
        .value_kind:     hidden_group_size_x
      - .offset:         102
        .size:           2
        .value_kind:     hidden_group_size_y
      - .offset:         104
        .size:           2
        .value_kind:     hidden_group_size_z
      - .offset:         106
        .size:           2
        .value_kind:     hidden_remainder_x
      - .offset:         108
        .size:           2
        .value_kind:     hidden_remainder_y
      - .offset:         110
        .size:           2
        .value_kind:     hidden_remainder_z
      - .offset:         128
        .size:           8
        .value_kind:     hidden_global_offset_x
      - .offset:         136
        .size:           8
        .value_kind:     hidden_global_offset_y
      - .offset:         144
        .size:           8
        .value_kind:     hidden_global_offset_z
      - .offset:         152
        .size:           2
        .value_kind:     hidden_grid_dims
      - .offset:         168
        .size:           8
        .value_kind:     hidden_hostcall_buffer
    .group_segment_fixed_size: 16384
    .kernarg_segment_align: 8
    .kernarg_segment_size: 344
    .language:       OpenCL C
    .language_version:
      - 2
      - 0
    .max_flat_workgroup_size: 1024
    .name:           Transform_I32_S_101_16_16_VW_4
    .private_segment_fixed_size: 64
    .sgpr_count:     42
    .sgpr_spill_count: 0
    .symbol:         Transform_I32_S_101_16_16_VW_4.kd
    .uniform_work_group_size: 1
    .uses_dynamic_stack: false
    .vgpr_count:     44
    .vgpr_spill_count: 0
    .wavefront_size: 64
  - .args:
      - .address_space:  global
        .offset:         0
        .size:           8
        .value_kind:     global_buffer
      - .address_space:  global
        .offset:         8
        .size:           8
        .value_kind:     global_buffer
      - .address_space:  global
        .offset:         16
        .size:           8
        .value_kind:     global_buffer
      - .offset:         24
        .size:           4
        .value_kind:     by_value
      - .address_space:  global
        .offset:         32
        .size:           8
        .value_kind:     global_buffer
      - .offset:         40
        .size:           4
        .value_kind:     by_value
      - .address_space:  global
        .offset:         48
        .size:           8
        .value_kind:     global_buffer
      - .offset:         56
        .size:           4
        .value_kind:     by_value
      - .offset:         60
        .size:           4
        .value_kind:     by_value
      - .offset:         64
        .size:           4
        .value_kind:     by_value
      - .offset:         68
        .size:           4
        .value_kind:     by_value
      - .offset:         72
        .size:           4
        .value_kind:     by_value
      - .offset:         76
        .size:           4
        .value_kind:     by_value
      - .offset:         80
        .size:           1
        .value_kind:     by_value
      - .offset:         81
        .size:           1
        .value_kind:     by_value
      - .offset:         88
        .size:           4
        .value_kind:     hidden_block_count_x
      - .offset:         92
        .size:           4
        .value_kind:     hidden_block_count_y
      - .offset:         96
        .size:           4
        .value_kind:     hidden_block_count_z
      - .offset:         100
        .size:           2
        .value_kind:     hidden_group_size_x
      - .offset:         102
        .size:           2
        .value_kind:     hidden_group_size_y
      - .offset:         104
        .size:           2
        .value_kind:     hidden_group_size_z
      - .offset:         106
        .size:           2
        .value_kind:     hidden_remainder_x
      - .offset:         108
        .size:           2
        .value_kind:     hidden_remainder_y
      - .offset:         110
        .size:           2
        .value_kind:     hidden_remainder_z
      - .offset:         128
        .size:           8
        .value_kind:     hidden_global_offset_x
      - .offset:         136
        .size:           8
        .value_kind:     hidden_global_offset_y
      - .offset:         144
        .size:           8
        .value_kind:     hidden_global_offset_z
      - .offset:         152
        .size:           2
        .value_kind:     hidden_grid_dims
      - .offset:         168
        .size:           8
        .value_kind:     hidden_hostcall_buffer
    .group_segment_fixed_size: 0
    .kernarg_segment_align: 8
    .kernarg_segment_size: 344
    .language:       OpenCL C
    .language_version:
      - 2
      - 0
    .max_flat_workgroup_size: 1024
    .name:           Transform_I32_S_100_16_16_VW_1
    .private_segment_fixed_size: 64
    .sgpr_count:     40
    .sgpr_spill_count: 0
    .symbol:         Transform_I32_S_100_16_16_VW_1.kd
    .uniform_work_group_size: 1
    .uses_dynamic_stack: false
    .vgpr_count:     42
    .vgpr_spill_count: 0
    .wavefront_size: 64
  - .args:
      - .address_space:  global
        .offset:         0
        .size:           8
        .value_kind:     global_buffer
      - .address_space:  global
        .offset:         8
        .size:           8
        .value_kind:     global_buffer
      - .address_space:  global
        .offset:         16
        .size:           8
        .value_kind:     global_buffer
      - .offset:         24
        .size:           4
        .value_kind:     by_value
      - .address_space:  global
        .offset:         32
        .size:           8
        .value_kind:     global_buffer
      - .offset:         40
        .size:           4
        .value_kind:     by_value
      - .address_space:  global
        .offset:         48
        .size:           8
        .value_kind:     global_buffer
      - .offset:         56
        .size:           4
        .value_kind:     by_value
      - .offset:         60
        .size:           4
        .value_kind:     by_value
      - .offset:         64
        .size:           4
        .value_kind:     by_value
      - .offset:         68
        .size:           4
        .value_kind:     by_value
      - .offset:         72
        .size:           4
        .value_kind:     by_value
      - .offset:         76
        .size:           4
        .value_kind:     by_value
      - .offset:         80
        .size:           1
        .value_kind:     by_value
      - .offset:         81
        .size:           1
        .value_kind:     by_value
      - .offset:         88
        .size:           4
        .value_kind:     hidden_block_count_x
      - .offset:         92
        .size:           4
        .value_kind:     hidden_block_count_y
      - .offset:         96
        .size:           4
        .value_kind:     hidden_block_count_z
      - .offset:         100
        .size:           2
        .value_kind:     hidden_group_size_x
      - .offset:         102
        .size:           2
        .value_kind:     hidden_group_size_y
      - .offset:         104
        .size:           2
        .value_kind:     hidden_group_size_z
      - .offset:         106
        .size:           2
        .value_kind:     hidden_remainder_x
      - .offset:         108
        .size:           2
        .value_kind:     hidden_remainder_y
      - .offset:         110
        .size:           2
        .value_kind:     hidden_remainder_z
      - .offset:         128
        .size:           8
        .value_kind:     hidden_global_offset_x
      - .offset:         136
        .size:           8
        .value_kind:     hidden_global_offset_y
      - .offset:         144
        .size:           8
        .value_kind:     hidden_global_offset_z
      - .offset:         152
        .size:           2
        .value_kind:     hidden_grid_dims
      - .offset:         168
        .size:           8
        .value_kind:     hidden_hostcall_buffer
    .group_segment_fixed_size: 16384
    .kernarg_segment_align: 8
    .kernarg_segment_size: 344
    .language:       OpenCL C
    .language_version:
      - 2
      - 0
    .max_flat_workgroup_size: 1024
    .name:           Transform_I32_S_100_16_16_VW_4
    .private_segment_fixed_size: 64
    .sgpr_count:     42
    .sgpr_spill_count: 0
    .symbol:         Transform_I32_S_100_16_16_VW_4.kd
    .uniform_work_group_size: 1
    .uses_dynamic_stack: false
    .vgpr_count:     44
    .vgpr_spill_count: 0
    .wavefront_size: 64
  - .args:
      - .address_space:  global
        .offset:         0
        .size:           8
        .value_kind:     global_buffer
      - .address_space:  global
        .offset:         8
        .size:           8
        .value_kind:     global_buffer
      - .address_space:  global
        .offset:         16
        .size:           8
        .value_kind:     global_buffer
      - .offset:         24
        .size:           4
        .value_kind:     by_value
      - .address_space:  global
        .offset:         32
        .size:           8
        .value_kind:     global_buffer
      - .offset:         40
        .size:           4
        .value_kind:     by_value
      - .address_space:  global
        .offset:         48
        .size:           8
        .value_kind:     global_buffer
      - .offset:         56
        .size:           4
        .value_kind:     by_value
      - .offset:         60
        .size:           4
        .value_kind:     by_value
      - .offset:         64
        .size:           4
        .value_kind:     by_value
      - .offset:         68
        .size:           4
        .value_kind:     by_value
      - .offset:         72
        .size:           4
        .value_kind:     by_value
      - .offset:         76
        .size:           4
        .value_kind:     by_value
      - .offset:         80
        .size:           1
        .value_kind:     by_value
      - .offset:         81
        .size:           1
        .value_kind:     by_value
      - .offset:         88
        .size:           4
        .value_kind:     hidden_block_count_x
      - .offset:         92
        .size:           4
        .value_kind:     hidden_block_count_y
      - .offset:         96
        .size:           4
        .value_kind:     hidden_block_count_z
      - .offset:         100
        .size:           2
        .value_kind:     hidden_group_size_x
      - .offset:         102
        .size:           2
        .value_kind:     hidden_group_size_y
      - .offset:         104
        .size:           2
        .value_kind:     hidden_group_size_z
      - .offset:         106
        .size:           2
        .value_kind:     hidden_remainder_x
      - .offset:         108
        .size:           2
        .value_kind:     hidden_remainder_y
      - .offset:         110
        .size:           2
        .value_kind:     hidden_remainder_z
      - .offset:         128
        .size:           8
        .value_kind:     hidden_global_offset_x
      - .offset:         136
        .size:           8
        .value_kind:     hidden_global_offset_y
      - .offset:         144
        .size:           8
        .value_kind:     hidden_global_offset_z
      - .offset:         152
        .size:           2
        .value_kind:     hidden_grid_dims
      - .offset:         168
        .size:           8
        .value_kind:     hidden_hostcall_buffer
    .group_segment_fixed_size: 0
    .kernarg_segment_align: 8
    .kernarg_segment_size: 344
    .language:       OpenCL C
    .language_version:
      - 2
      - 0
    .max_flat_workgroup_size: 1024
    .name:           Transform_I32_S_011_16_16_VW_1
    .private_segment_fixed_size: 64
    .sgpr_count:     40
    .sgpr_spill_count: 0
    .symbol:         Transform_I32_S_011_16_16_VW_1.kd
    .uniform_work_group_size: 1
    .uses_dynamic_stack: false
    .vgpr_count:     42
    .vgpr_spill_count: 0
    .wavefront_size: 64
  - .args:
      - .address_space:  global
        .offset:         0
        .size:           8
        .value_kind:     global_buffer
      - .address_space:  global
        .offset:         8
        .size:           8
        .value_kind:     global_buffer
      - .address_space:  global
        .offset:         16
        .size:           8
        .value_kind:     global_buffer
      - .offset:         24
        .size:           4
        .value_kind:     by_value
      - .address_space:  global
        .offset:         32
        .size:           8
        .value_kind:     global_buffer
      - .offset:         40
        .size:           4
        .value_kind:     by_value
      - .address_space:  global
        .offset:         48
        .size:           8
        .value_kind:     global_buffer
      - .offset:         56
        .size:           4
        .value_kind:     by_value
      - .offset:         60
        .size:           4
        .value_kind:     by_value
      - .offset:         64
        .size:           4
        .value_kind:     by_value
      - .offset:         68
        .size:           4
        .value_kind:     by_value
      - .offset:         72
        .size:           4
        .value_kind:     by_value
      - .offset:         76
        .size:           4
        .value_kind:     by_value
      - .offset:         80
        .size:           1
        .value_kind:     by_value
      - .offset:         81
        .size:           1
        .value_kind:     by_value
      - .offset:         88
        .size:           4
        .value_kind:     hidden_block_count_x
      - .offset:         92
        .size:           4
        .value_kind:     hidden_block_count_y
      - .offset:         96
        .size:           4
        .value_kind:     hidden_block_count_z
      - .offset:         100
        .size:           2
        .value_kind:     hidden_group_size_x
      - .offset:         102
        .size:           2
        .value_kind:     hidden_group_size_y
      - .offset:         104
        .size:           2
        .value_kind:     hidden_group_size_z
      - .offset:         106
        .size:           2
        .value_kind:     hidden_remainder_x
      - .offset:         108
        .size:           2
        .value_kind:     hidden_remainder_y
      - .offset:         110
        .size:           2
        .value_kind:     hidden_remainder_z
      - .offset:         128
        .size:           8
        .value_kind:     hidden_global_offset_x
      - .offset:         136
        .size:           8
        .value_kind:     hidden_global_offset_y
      - .offset:         144
        .size:           8
        .value_kind:     hidden_global_offset_z
      - .offset:         152
        .size:           2
        .value_kind:     hidden_grid_dims
      - .offset:         168
        .size:           8
        .value_kind:     hidden_hostcall_buffer
    .group_segment_fixed_size: 16384
    .kernarg_segment_align: 8
    .kernarg_segment_size: 344
    .language:       OpenCL C
    .language_version:
      - 2
      - 0
    .max_flat_workgroup_size: 1024
    .name:           Transform_I32_S_011_16_16_VW_4
    .private_segment_fixed_size: 64
    .sgpr_count:     42
    .sgpr_spill_count: 0
    .symbol:         Transform_I32_S_011_16_16_VW_4.kd
    .uniform_work_group_size: 1
    .uses_dynamic_stack: false
    .vgpr_count:     44
    .vgpr_spill_count: 0
    .wavefront_size: 64
  - .args:
      - .address_space:  global
        .offset:         0
        .size:           8
        .value_kind:     global_buffer
      - .address_space:  global
        .offset:         8
        .size:           8
        .value_kind:     global_buffer
      - .address_space:  global
        .offset:         16
        .size:           8
        .value_kind:     global_buffer
      - .offset:         24
        .size:           4
        .value_kind:     by_value
      - .address_space:  global
        .offset:         32
        .size:           8
        .value_kind:     global_buffer
      - .offset:         40
        .size:           4
        .value_kind:     by_value
      - .address_space:  global
        .offset:         48
        .size:           8
        .value_kind:     global_buffer
      - .offset:         56
        .size:           4
        .value_kind:     by_value
      - .offset:         60
        .size:           4
        .value_kind:     by_value
      - .offset:         64
        .size:           4
        .value_kind:     by_value
      - .offset:         68
        .size:           4
        .value_kind:     by_value
      - .offset:         72
        .size:           4
        .value_kind:     by_value
      - .offset:         76
        .size:           4
        .value_kind:     by_value
      - .offset:         80
        .size:           1
        .value_kind:     by_value
      - .offset:         81
        .size:           1
        .value_kind:     by_value
      - .offset:         88
        .size:           4
        .value_kind:     hidden_block_count_x
      - .offset:         92
        .size:           4
        .value_kind:     hidden_block_count_y
      - .offset:         96
        .size:           4
        .value_kind:     hidden_block_count_z
      - .offset:         100
        .size:           2
        .value_kind:     hidden_group_size_x
      - .offset:         102
        .size:           2
        .value_kind:     hidden_group_size_y
      - .offset:         104
        .size:           2
        .value_kind:     hidden_group_size_z
      - .offset:         106
        .size:           2
        .value_kind:     hidden_remainder_x
      - .offset:         108
        .size:           2
        .value_kind:     hidden_remainder_y
      - .offset:         110
        .size:           2
        .value_kind:     hidden_remainder_z
      - .offset:         128
        .size:           8
        .value_kind:     hidden_global_offset_x
      - .offset:         136
        .size:           8
        .value_kind:     hidden_global_offset_y
      - .offset:         144
        .size:           8
        .value_kind:     hidden_global_offset_z
      - .offset:         152
        .size:           2
        .value_kind:     hidden_grid_dims
      - .offset:         168
        .size:           8
        .value_kind:     hidden_hostcall_buffer
    .group_segment_fixed_size: 0
    .kernarg_segment_align: 8
    .kernarg_segment_size: 344
    .language:       OpenCL C
    .language_version:
      - 2
      - 0
    .max_flat_workgroup_size: 1024
    .name:           Transform_I32_S_010_16_16_VW_1
    .private_segment_fixed_size: 64
    .sgpr_count:     40
    .sgpr_spill_count: 0
    .symbol:         Transform_I32_S_010_16_16_VW_1.kd
    .uniform_work_group_size: 1
    .uses_dynamic_stack: false
    .vgpr_count:     42
    .vgpr_spill_count: 0
    .wavefront_size: 64
  - .args:
      - .address_space:  global
        .offset:         0
        .size:           8
        .value_kind:     global_buffer
      - .address_space:  global
        .offset:         8
        .size:           8
        .value_kind:     global_buffer
      - .address_space:  global
        .offset:         16
        .size:           8
        .value_kind:     global_buffer
      - .offset:         24
        .size:           4
        .value_kind:     by_value
      - .address_space:  global
        .offset:         32
        .size:           8
        .value_kind:     global_buffer
      - .offset:         40
        .size:           4
        .value_kind:     by_value
      - .address_space:  global
        .offset:         48
        .size:           8
        .value_kind:     global_buffer
      - .offset:         56
        .size:           4
        .value_kind:     by_value
      - .offset:         60
        .size:           4
        .value_kind:     by_value
      - .offset:         64
        .size:           4
        .value_kind:     by_value
      - .offset:         68
        .size:           4
        .value_kind:     by_value
      - .offset:         72
        .size:           4
        .value_kind:     by_value
      - .offset:         76
        .size:           4
        .value_kind:     by_value
      - .offset:         80
        .size:           1
        .value_kind:     by_value
      - .offset:         81
        .size:           1
        .value_kind:     by_value
      - .offset:         88
        .size:           4
        .value_kind:     hidden_block_count_x
      - .offset:         92
        .size:           4
        .value_kind:     hidden_block_count_y
      - .offset:         96
        .size:           4
        .value_kind:     hidden_block_count_z
      - .offset:         100
        .size:           2
        .value_kind:     hidden_group_size_x
      - .offset:         102
        .size:           2
        .value_kind:     hidden_group_size_y
      - .offset:         104
        .size:           2
        .value_kind:     hidden_group_size_z
      - .offset:         106
        .size:           2
        .value_kind:     hidden_remainder_x
      - .offset:         108
        .size:           2
        .value_kind:     hidden_remainder_y
      - .offset:         110
        .size:           2
        .value_kind:     hidden_remainder_z
      - .offset:         128
        .size:           8
        .value_kind:     hidden_global_offset_x
      - .offset:         136
        .size:           8
        .value_kind:     hidden_global_offset_y
      - .offset:         144
        .size:           8
        .value_kind:     hidden_global_offset_z
      - .offset:         152
        .size:           2
        .value_kind:     hidden_grid_dims
      - .offset:         168
        .size:           8
        .value_kind:     hidden_hostcall_buffer
    .group_segment_fixed_size: 16384
    .kernarg_segment_align: 8
    .kernarg_segment_size: 344
    .language:       OpenCL C
    .language_version:
      - 2
      - 0
    .max_flat_workgroup_size: 1024
    .name:           Transform_I32_S_010_16_16_VW_4
    .private_segment_fixed_size: 64
    .sgpr_count:     42
    .sgpr_spill_count: 0
    .symbol:         Transform_I32_S_010_16_16_VW_4.kd
    .uniform_work_group_size: 1
    .uses_dynamic_stack: false
    .vgpr_count:     44
    .vgpr_spill_count: 0
    .wavefront_size: 64
  - .args:
      - .address_space:  global
        .offset:         0
        .size:           8
        .value_kind:     global_buffer
      - .address_space:  global
        .offset:         8
        .size:           8
        .value_kind:     global_buffer
      - .address_space:  global
        .offset:         16
        .size:           8
        .value_kind:     global_buffer
      - .offset:         24
        .size:           4
        .value_kind:     by_value
      - .address_space:  global
        .offset:         32
        .size:           8
        .value_kind:     global_buffer
      - .offset:         40
        .size:           4
        .value_kind:     by_value
      - .address_space:  global
        .offset:         48
        .size:           8
        .value_kind:     global_buffer
      - .offset:         56
        .size:           4
        .value_kind:     by_value
      - .offset:         60
        .size:           4
        .value_kind:     by_value
      - .offset:         64
        .size:           4
        .value_kind:     by_value
      - .offset:         68
        .size:           4
        .value_kind:     by_value
      - .offset:         72
        .size:           4
        .value_kind:     by_value
      - .offset:         76
        .size:           4
        .value_kind:     by_value
      - .offset:         80
        .size:           1
        .value_kind:     by_value
      - .offset:         81
        .size:           1
        .value_kind:     by_value
      - .offset:         88
        .size:           4
        .value_kind:     hidden_block_count_x
      - .offset:         92
        .size:           4
        .value_kind:     hidden_block_count_y
      - .offset:         96
        .size:           4
        .value_kind:     hidden_block_count_z
      - .offset:         100
        .size:           2
        .value_kind:     hidden_group_size_x
      - .offset:         102
        .size:           2
        .value_kind:     hidden_group_size_y
      - .offset:         104
        .size:           2
        .value_kind:     hidden_group_size_z
      - .offset:         106
        .size:           2
        .value_kind:     hidden_remainder_x
      - .offset:         108
        .size:           2
        .value_kind:     hidden_remainder_y
      - .offset:         110
        .size:           2
        .value_kind:     hidden_remainder_z
      - .offset:         128
        .size:           8
        .value_kind:     hidden_global_offset_x
      - .offset:         136
        .size:           8
        .value_kind:     hidden_global_offset_y
      - .offset:         144
        .size:           8
        .value_kind:     hidden_global_offset_z
      - .offset:         152
        .size:           2
        .value_kind:     hidden_grid_dims
      - .offset:         168
        .size:           8
        .value_kind:     hidden_hostcall_buffer
    .group_segment_fixed_size: 0
    .kernarg_segment_align: 8
    .kernarg_segment_size: 344
    .language:       OpenCL C
    .language_version:
      - 2
      - 0
    .max_flat_workgroup_size: 1024
    .name:           Transform_I32_S_001_16_16_VW_1
    .private_segment_fixed_size: 64
    .sgpr_count:     40
    .sgpr_spill_count: 0
    .symbol:         Transform_I32_S_001_16_16_VW_1.kd
    .uniform_work_group_size: 1
    .uses_dynamic_stack: false
    .vgpr_count:     42
    .vgpr_spill_count: 0
    .wavefront_size: 64
  - .args:
      - .address_space:  global
        .offset:         0
        .size:           8
        .value_kind:     global_buffer
      - .address_space:  global
        .offset:         8
        .size:           8
        .value_kind:     global_buffer
      - .address_space:  global
        .offset:         16
        .size:           8
        .value_kind:     global_buffer
      - .offset:         24
        .size:           4
        .value_kind:     by_value
      - .address_space:  global
        .offset:         32
        .size:           8
        .value_kind:     global_buffer
      - .offset:         40
        .size:           4
        .value_kind:     by_value
      - .address_space:  global
        .offset:         48
        .size:           8
        .value_kind:     global_buffer
      - .offset:         56
        .size:           4
        .value_kind:     by_value
      - .offset:         60
        .size:           4
        .value_kind:     by_value
      - .offset:         64
        .size:           4
        .value_kind:     by_value
      - .offset:         68
        .size:           4
        .value_kind:     by_value
      - .offset:         72
        .size:           4
        .value_kind:     by_value
      - .offset:         76
        .size:           4
        .value_kind:     by_value
      - .offset:         80
        .size:           1
        .value_kind:     by_value
      - .offset:         81
        .size:           1
        .value_kind:     by_value
      - .offset:         88
        .size:           4
        .value_kind:     hidden_block_count_x
      - .offset:         92
        .size:           4
        .value_kind:     hidden_block_count_y
      - .offset:         96
        .size:           4
        .value_kind:     hidden_block_count_z
      - .offset:         100
        .size:           2
        .value_kind:     hidden_group_size_x
      - .offset:         102
        .size:           2
        .value_kind:     hidden_group_size_y
      - .offset:         104
        .size:           2
        .value_kind:     hidden_group_size_z
      - .offset:         106
        .size:           2
        .value_kind:     hidden_remainder_x
      - .offset:         108
        .size:           2
        .value_kind:     hidden_remainder_y
      - .offset:         110
        .size:           2
        .value_kind:     hidden_remainder_z
      - .offset:         128
        .size:           8
        .value_kind:     hidden_global_offset_x
      - .offset:         136
        .size:           8
        .value_kind:     hidden_global_offset_y
      - .offset:         144
        .size:           8
        .value_kind:     hidden_global_offset_z
      - .offset:         152
        .size:           2
        .value_kind:     hidden_grid_dims
      - .offset:         168
        .size:           8
        .value_kind:     hidden_hostcall_buffer
    .group_segment_fixed_size: 16384
    .kernarg_segment_align: 8
    .kernarg_segment_size: 344
    .language:       OpenCL C
    .language_version:
      - 2
      - 0
    .max_flat_workgroup_size: 1024
    .name:           Transform_I32_S_001_16_16_VW_4
    .private_segment_fixed_size: 64
    .sgpr_count:     42
    .sgpr_spill_count: 0
    .symbol:         Transform_I32_S_001_16_16_VW_4.kd
    .uniform_work_group_size: 1
    .uses_dynamic_stack: false
    .vgpr_count:     44
    .vgpr_spill_count: 0
    .wavefront_size: 64
  - .args:
      - .address_space:  global
        .offset:         0
        .size:           8
        .value_kind:     global_buffer
      - .address_space:  global
        .offset:         8
        .size:           8
        .value_kind:     global_buffer
      - .address_space:  global
        .offset:         16
        .size:           8
        .value_kind:     global_buffer
      - .offset:         24
        .size:           4
        .value_kind:     by_value
      - .address_space:  global
        .offset:         32
        .size:           8
        .value_kind:     global_buffer
      - .offset:         40
        .size:           4
        .value_kind:     by_value
      - .address_space:  global
        .offset:         48
        .size:           8
        .value_kind:     global_buffer
      - .offset:         56
        .size:           4
        .value_kind:     by_value
      - .offset:         60
        .size:           4
        .value_kind:     by_value
      - .offset:         64
        .size:           4
        .value_kind:     by_value
      - .offset:         68
        .size:           4
        .value_kind:     by_value
      - .offset:         72
        .size:           4
        .value_kind:     by_value
      - .offset:         76
        .size:           4
        .value_kind:     by_value
      - .offset:         80
        .size:           1
        .value_kind:     by_value
      - .offset:         81
        .size:           1
        .value_kind:     by_value
      - .offset:         88
        .size:           4
        .value_kind:     hidden_block_count_x
      - .offset:         92
        .size:           4
        .value_kind:     hidden_block_count_y
      - .offset:         96
        .size:           4
        .value_kind:     hidden_block_count_z
      - .offset:         100
        .size:           2
        .value_kind:     hidden_group_size_x
      - .offset:         102
        .size:           2
        .value_kind:     hidden_group_size_y
      - .offset:         104
        .size:           2
        .value_kind:     hidden_group_size_z
      - .offset:         106
        .size:           2
        .value_kind:     hidden_remainder_x
      - .offset:         108
        .size:           2
        .value_kind:     hidden_remainder_y
      - .offset:         110
        .size:           2
        .value_kind:     hidden_remainder_z
      - .offset:         128
        .size:           8
        .value_kind:     hidden_global_offset_x
      - .offset:         136
        .size:           8
        .value_kind:     hidden_global_offset_y
      - .offset:         144
        .size:           8
        .value_kind:     hidden_global_offset_z
      - .offset:         152
        .size:           2
        .value_kind:     hidden_grid_dims
      - .offset:         168
        .size:           8
        .value_kind:     hidden_hostcall_buffer
    .group_segment_fixed_size: 0
    .kernarg_segment_align: 8
    .kernarg_segment_size: 344
    .language:       OpenCL C
    .language_version:
      - 2
      - 0
    .max_flat_workgroup_size: 1024
    .name:           Transform_I32_S_000_16_16_VW_1
    .private_segment_fixed_size: 64
    .sgpr_count:     40
    .sgpr_spill_count: 0
    .symbol:         Transform_I32_S_000_16_16_VW_1.kd
    .uniform_work_group_size: 1
    .uses_dynamic_stack: false
    .vgpr_count:     42
    .vgpr_spill_count: 0
    .wavefront_size: 64
  - .args:
      - .address_space:  global
        .offset:         0
        .size:           8
        .value_kind:     global_buffer
      - .address_space:  global
        .offset:         8
        .size:           8
        .value_kind:     global_buffer
      - .address_space:  global
        .offset:         16
        .size:           8
        .value_kind:     global_buffer
      - .offset:         24
        .size:           4
        .value_kind:     by_value
      - .address_space:  global
        .offset:         32
        .size:           8
        .value_kind:     global_buffer
      - .offset:         40
        .size:           4
        .value_kind:     by_value
      - .address_space:  global
        .offset:         48
        .size:           8
        .value_kind:     global_buffer
      - .offset:         56
        .size:           4
        .value_kind:     by_value
      - .offset:         60
        .size:           4
        .value_kind:     by_value
      - .offset:         64
        .size:           4
        .value_kind:     by_value
      - .offset:         68
        .size:           4
        .value_kind:     by_value
      - .offset:         72
        .size:           4
        .value_kind:     by_value
      - .offset:         76
        .size:           4
        .value_kind:     by_value
      - .offset:         80
        .size:           1
        .value_kind:     by_value
      - .offset:         81
        .size:           1
        .value_kind:     by_value
      - .offset:         88
        .size:           4
        .value_kind:     hidden_block_count_x
      - .offset:         92
        .size:           4
        .value_kind:     hidden_block_count_y
      - .offset:         96
        .size:           4
        .value_kind:     hidden_block_count_z
      - .offset:         100
        .size:           2
        .value_kind:     hidden_group_size_x
      - .offset:         102
        .size:           2
        .value_kind:     hidden_group_size_y
      - .offset:         104
        .size:           2
        .value_kind:     hidden_group_size_z
      - .offset:         106
        .size:           2
        .value_kind:     hidden_remainder_x
      - .offset:         108
        .size:           2
        .value_kind:     hidden_remainder_y
      - .offset:         110
        .size:           2
        .value_kind:     hidden_remainder_z
      - .offset:         128
        .size:           8
        .value_kind:     hidden_global_offset_x
      - .offset:         136
        .size:           8
        .value_kind:     hidden_global_offset_y
      - .offset:         144
        .size:           8
        .value_kind:     hidden_global_offset_z
      - .offset:         152
        .size:           2
        .value_kind:     hidden_grid_dims
      - .offset:         168
        .size:           8
        .value_kind:     hidden_hostcall_buffer
    .group_segment_fixed_size: 16384
    .kernarg_segment_align: 8
    .kernarg_segment_size: 344
    .language:       OpenCL C
    .language_version:
      - 2
      - 0
    .max_flat_workgroup_size: 1024
    .name:           Transform_I32_S_000_16_16_VW_4
    .private_segment_fixed_size: 64
    .sgpr_count:     42
    .sgpr_spill_count: 0
    .symbol:         Transform_I32_S_000_16_16_VW_4.kd
    .uniform_work_group_size: 1
    .uses_dynamic_stack: false
    .vgpr_count:     44
    .vgpr_spill_count: 0
    .wavefront_size: 64
amdhsa.target:   amdgcn-amd-amdhsa--gfx906
amdhsa.version:
  - 1
  - 2
...

	.end_amdgpu_metadata
